;; amdgpu-corpus repo=ROCm/rocFFT kind=compiled arch=gfx1100 opt=O3
	.text
	.amdgcn_target "amdgcn-amd-amdhsa--gfx1100"
	.amdhsa_code_object_version 6
	.protected	bluestein_single_fwd_len3645_dim1_dp_op_CI_CI ; -- Begin function bluestein_single_fwd_len3645_dim1_dp_op_CI_CI
	.globl	bluestein_single_fwd_len3645_dim1_dp_op_CI_CI
	.p2align	8
	.type	bluestein_single_fwd_len3645_dim1_dp_op_CI_CI,@function
bluestein_single_fwd_len3645_dim1_dp_op_CI_CI: ; @bluestein_single_fwd_len3645_dim1_dp_op_CI_CI
; %bb.0:
	s_load_b128 s[16:19], s[0:1], 0x28
	v_mul_u32_u24_e32 v1, 0x10e, v0
	s_mov_b32 s2, exec_lo
	v_mov_b32_e32 v3, 0
	s_delay_alu instid0(VALU_DEP_2) | instskip(NEXT) | instid1(VALU_DEP_1)
	v_lshrrev_b32_e32 v1, 16, v1
	v_add_nc_u32_e32 v2, s15, v1
	s_waitcnt lgkmcnt(0)
	s_delay_alu instid0(VALU_DEP_1)
	v_cmpx_gt_u64_e64 s[16:17], v[2:3]
	s_cbranch_execz .LBB0_2
; %bb.1:
	s_clause 0x1
	s_load_b128 s[4:7], s[0:1], 0x18
	s_load_b128 s[8:11], s[0:1], 0x0
	v_mul_lo_u16 v1, 0xf3, v1
	s_mov_b32 s21, 0xbfee6f0e
	s_mov_b32 s16, 0x372fe950
	;; [unrolled: 1-line block ×3, first 2 shown]
	s_load_b64 s[0:1], s[0:1], 0x38
	v_sub_nc_u16 v158, v0, v1
	s_delay_alu instid0(VALU_DEP_1) | instskip(SKIP_4) | instid1(VALU_DEP_1)
	v_dual_mov_b32 v6, v2 :: v_dual_and_b32 v3, 0xffff, v158
	scratch_store_b64 off, v[6:7], off      ; 8-byte Folded Spill
	v_mov_b32_e32 v7, v3
	s_waitcnt lgkmcnt(0)
	s_load_b128 s[12:15], s[4:5], 0x0
	v_dual_mov_b32 v132, v7 :: v_dual_lshlrev_b32 v75, 4, v7
	s_delay_alu instid0(VALU_DEP_1) | instskip(NEXT) | instid1(VALU_DEP_1)
	v_add_co_u32 v76, s2, s8, v75
	v_add_co_ci_u32_e64 v77, null, s9, 0, s2
	global_load_b128 v[38:41], v75, s[8:9]
	v_add_co_u32 v159, null, 0x2d9, v132
	s_waitcnt lgkmcnt(0)
	v_mad_u64_u32 v[0:1], null, s14, v2, 0
	v_mad_u64_u32 v[2:3], null, s12, v7, 0
	s_mul_i32 s2, s13, 0x2d90
	s_mul_hi_u32 s4, s12, 0x2d90
	s_mul_i32 s3, s12, 0x2d90
	s_add_i32 s2, s4, s2
	s_mul_i32 s4, s13, 0xffff58f0
	s_delay_alu instid0(VALU_DEP_1) | instskip(SKIP_2) | instid1(VALU_DEP_1)
	v_mad_u64_u32 v[4:5], null, s15, v6, v[1:2]
	s_sub_i32 s4, s4, s12
	s_mov_b32 s15, 0xbfe2cf23
	v_mad_u64_u32 v[5:6], null, s13, v7, v[3:4]
	v_mov_b32_e32 v1, v4
	s_delay_alu instid0(VALU_DEP_1) | instskip(NEXT) | instid1(VALU_DEP_3)
	v_lshlrev_b64 v[0:1], 4, v[0:1]
	v_mov_b32_e32 v3, v5
	s_delay_alu instid0(VALU_DEP_2) | instskip(NEXT) | instid1(VALU_DEP_2)
	v_add_co_u32 v0, vcc_lo, s18, v0
	v_lshlrev_b64 v[2:3], 4, v[2:3]
	s_delay_alu instid0(VALU_DEP_4) | instskip(SKIP_3) | instid1(VALU_DEP_2)
	v_add_co_ci_u32_e32 v1, vcc_lo, s19, v1, vcc_lo
	s_mov_b32 s18, 0x134454ff
	s_mov_b32 s19, 0x3fee6f0e
	;; [unrolled: 1-line block ×3, first 2 shown]
	v_add_co_u32 v0, vcc_lo, v0, v2
	v_add_co_ci_u32_e32 v1, vcc_lo, v1, v3, vcc_lo
	v_add_co_u32 v7, vcc_lo, 0x2000, v76
	v_add_co_ci_u32_e32 v8, vcc_lo, 0, v77, vcc_lo
	global_load_b128 v[3:6], v[0:1], off
	v_add_co_u32 v0, vcc_lo, v0, s3
	v_add_co_ci_u32_e32 v1, vcc_lo, s2, v1, vcc_lo
	global_load_b128 v[48:51], v[7:8], off offset:3472
	global_load_b128 v[7:10], v[0:1], off
	v_add_co_u32 v11, vcc_lo, 0x5000, v76
	v_add_co_ci_u32_e32 v12, vcc_lo, 0, v77, vcc_lo
	v_add_co_u32 v0, vcc_lo, v0, s3
	v_add_co_ci_u32_e32 v1, vcc_lo, s2, v1, vcc_lo
	global_load_b128 v[42:45], v[11:12], off offset:2848
	global_load_b128 v[11:14], v[0:1], off
	v_add_co_u32 v15, vcc_lo, 0x8000, v76
	v_add_co_ci_u32_e32 v16, vcc_lo, 0, v77, vcc_lo
	v_add_co_u32 v0, vcc_lo, v0, s3
	v_add_co_ci_u32_e32 v1, vcc_lo, s2, v1, vcc_lo
	global_load_b128 v[56:59], v[15:16], off offset:2224
	global_load_b128 v[20:23], v[0:1], off
	v_add_co_u32 v15, vcc_lo, 0xb000, v76
	v_add_co_ci_u32_e32 v16, vcc_lo, 0, v77, vcc_lo
	v_add_co_u32 v0, vcc_lo, v0, s3
	v_add_co_ci_u32_e32 v1, vcc_lo, s2, v1, vcc_lo
	global_load_b128 v[52:55], v[15:16], off offset:1600
	v_mad_u64_u32 v[32:33], null, 0xffff58f0, s12, v[0:1]
	global_load_b128 v[24:27], v[0:1], off
	v_add_nc_u32_e32 v33, s4, v33
	global_load_b128 v[60:63], v75, s[8:9] offset:3888
	global_load_b128 v[28:31], v[32:33], off
	s_mov_b32 s9, 0xbfebb67a
	s_waitcnt vmcnt(11)
	scratch_store_b128 off, v[38:41], off offset:200 ; 16-byte Folded Spill
	s_waitcnt vmcnt(10)
	v_mul_f64 v[0:1], v[5:6], v[40:41]
	v_mul_f64 v[18:19], v[3:4], v[40:41]
	s_waitcnt vmcnt(8)
	v_mul_f64 v[34:35], v[9:10], v[50:51]
	v_mul_f64 v[36:37], v[7:8], v[50:51]
	s_waitcnt vmcnt(7)
	scratch_store_b128 off, v[42:45], off offset:88 ; 16-byte Folded Spill
	s_waitcnt vmcnt(5)
	scratch_store_b128 off, v[56:59], off offset:72 ; 16-byte Folded Spill
	v_fma_f64 v[16:17], v[3:4], v[38:39], v[0:1]
	v_mul_f64 v[0:1], v[13:14], v[44:45]
	v_mul_f64 v[2:3], v[11:12], v[44:45]
	v_fma_f64 v[18:19], v[5:6], v[38:39], -v[18:19]
	s_waitcnt vmcnt(4)
	v_mul_f64 v[4:5], v[22:23], v[58:59]
	v_fma_f64 v[44:45], v[7:8], v[48:49], v[34:35]
	v_mul_f64 v[6:7], v[20:21], v[58:59]
	v_fma_f64 v[46:47], v[9:10], v[48:49], -v[36:37]
	v_fma_f64 v[8:9], v[11:12], v[42:43], v[0:1]
	s_waitcnt vmcnt(2)
	v_mul_f64 v[0:1], v[26:27], v[54:55]
	v_fma_f64 v[10:11], v[13:14], v[42:43], -v[2:3]
	v_mul_f64 v[2:3], v[24:25], v[54:55]
	v_fma_f64 v[12:13], v[20:21], v[56:57], v[4:5]
	s_waitcnt vmcnt(0)
	v_mul_f64 v[20:21], v[30:31], v[62:63]
	v_fma_f64 v[14:15], v[22:23], v[56:57], -v[6:7]
	v_mul_f64 v[22:23], v[28:29], v[62:63]
	v_fma_f64 v[4:5], v[24:25], v[52:53], v[0:1]
	v_add_co_u32 v0, vcc_lo, 0x3000, v76
	v_add_co_ci_u32_e32 v1, vcc_lo, 0, v77, vcc_lo
	v_fma_f64 v[6:7], v[26:27], v[52:53], -v[2:3]
	v_add_co_u32 v2, vcc_lo, v32, s3
	v_add_co_ci_u32_e32 v3, vcc_lo, s2, v33, vcc_lo
	global_load_b128 v[38:41], v[0:1], off offset:3264
	v_fma_f64 v[24:25], v[28:29], v[60:61], v[20:21]
	v_fma_f64 v[26:27], v[30:31], v[60:61], -v[22:23]
	global_load_b128 v[20:23], v[2:3], off
	scratch_store_b128 off, v[52:55], off offset:8 ; 16-byte Folded Spill
	s_waitcnt vmcnt(1)
	scratch_store_b128 off, v[38:41], off offset:24 ; 16-byte Folded Spill
	s_waitcnt vmcnt(0)
	v_mul_f64 v[0:1], v[22:23], v[40:41]
	v_mul_f64 v[28:29], v[20:21], v[40:41]
	s_delay_alu instid0(VALU_DEP_2)
	v_fma_f64 v[20:21], v[20:21], v[38:39], v[0:1]
	v_add_co_u32 v0, vcc_lo, v2, s3
	v_add_co_ci_u32_e32 v1, vcc_lo, s2, v3, vcc_lo
	v_add_co_u32 v2, vcc_lo, 0x6000, v76
	v_add_co_ci_u32_e32 v3, vcc_lo, 0, v77, vcc_lo
	v_fma_f64 v[22:23], v[22:23], v[38:39], -v[28:29]
	global_load_b128 v[28:31], v[0:1], off
	v_add_co_u32 v0, vcc_lo, v0, s3
	global_load_b128 v[34:37], v[2:3], off offset:2640
	v_add_co_ci_u32_e32 v1, vcc_lo, s2, v1, vcc_lo
	scratch_store_b128 off, v[60:63], off offset:40 ; 16-byte Folded Spill
	s_waitcnt vmcnt(0)
	scratch_store_b128 off, v[34:37], off offset:56 ; 16-byte Folded Spill
	v_mul_f64 v[2:3], v[30:31], v[36:37]
	v_mul_f64 v[32:33], v[28:29], v[36:37]
	s_delay_alu instid0(VALU_DEP_2) | instskip(SKIP_2) | instid1(VALU_DEP_4)
	v_fma_f64 v[28:29], v[28:29], v[34:35], v[2:3]
	v_add_co_u32 v2, vcc_lo, 0x9000, v76
	v_add_co_ci_u32_e32 v3, vcc_lo, 0, v77, vcc_lo
	v_fma_f64 v[30:31], v[30:31], v[34:35], -v[32:33]
	global_load_b128 v[32:35], v[0:1], off
	v_add_co_u32 v0, vcc_lo, v0, s3
	global_load_b128 v[38:41], v[2:3], off offset:2016
	v_add_co_ci_u32_e32 v1, vcc_lo, s2, v1, vcc_lo
	scratch_store_b128 off, v[48:51], off offset:120 ; 16-byte Folded Spill
	s_waitcnt vmcnt(0)
	scratch_store_b128 off, v[38:41], off offset:104 ; 16-byte Folded Spill
	v_mul_f64 v[2:3], v[34:35], v[40:41]
	v_mul_f64 v[36:37], v[32:33], v[40:41]
	s_delay_alu instid0(VALU_DEP_2) | instskip(SKIP_2) | instid1(VALU_DEP_4)
	v_fma_f64 v[32:33], v[32:33], v[38:39], v[2:3]
	v_add_co_u32 v2, vcc_lo, 0xc000, v76
	v_add_co_ci_u32_e32 v3, vcc_lo, 0, v77, vcc_lo
	v_fma_f64 v[34:35], v[34:35], v[38:39], -v[36:37]
	v_add_co_u32 v36, vcc_lo, 0x1000, v76
	global_load_b128 v[52:55], v[2:3], off offset:1392
	v_add_co_ci_u32_e32 v37, vcc_lo, 0, v77, vcc_lo
	s_waitcnt vmcnt(0)
	scratch_store_b128 off, v[52:55], off offset:136 ; 16-byte Folded Spill
	global_load_b128 v[48:51], v[36:37], off offset:3680
	global_load_b128 v[36:39], v[0:1], off
	s_waitcnt vmcnt(0)
	v_mul_f64 v[2:3], v[38:39], v[54:55]
	v_mul_f64 v[40:41], v[36:37], v[54:55]
	s_delay_alu instid0(VALU_DEP_2) | instskip(SKIP_1) | instid1(VALU_DEP_3)
	v_fma_f64 v[36:37], v[36:37], v[52:53], v[2:3]
	v_mad_u64_u32 v[2:3], null, 0xffff58f0, s12, v[0:1]
	v_fma_f64 v[38:39], v[38:39], v[52:53], -v[40:41]
	v_mov_b32_e32 v53, v51
	v_dual_mov_b32 v52, v50 :: v_dual_mov_b32 v51, v49
	v_mov_b32_e32 v50, v48
	s_mov_b32 s12, 0x4755a5e
	v_add_nc_u32_e32 v3, s4, v3
	s_mov_b32 s13, 0x3fe2cf23
	s_mov_b32 s14, s12
	global_load_b128 v[40:43], v[2:3], off
	s_waitcnt vmcnt(0)
	v_mul_f64 v[0:1], v[42:43], v[52:53]
	v_mul_f64 v[48:49], v[40:41], v[52:53]
	s_delay_alu instid0(VALU_DEP_2)
	v_fma_f64 v[40:41], v[40:41], v[50:51], v[0:1]
	v_add_co_u32 v0, vcc_lo, v2, s3
	v_add_co_ci_u32_e32 v1, vcc_lo, s2, v3, vcc_lo
	v_add_co_u32 v2, vcc_lo, 0x4000, v76
	v_add_co_ci_u32_e32 v3, vcc_lo, 0, v77, vcc_lo
	v_fma_f64 v[42:43], v[42:43], v[50:51], -v[48:49]
	global_load_b128 v[54:57], v[2:3], off offset:3056
	scratch_store_b128 off, v[50:53], off offset:152 ; 16-byte Folded Spill
	global_load_b128 v[48:51], v[0:1], off
	v_add_co_u32 v0, vcc_lo, v0, s3
	v_add_co_ci_u32_e32 v1, vcc_lo, s2, v1, vcc_lo
	s_waitcnt vmcnt(1)
	scratch_store_b128 off, v[54:57], off offset:168 ; 16-byte Folded Spill
	s_waitcnt vmcnt(0)
	v_mul_f64 v[2:3], v[50:51], v[56:57]
	v_mul_f64 v[52:53], v[48:49], v[56:57]
	s_delay_alu instid0(VALU_DEP_2) | instskip(SKIP_2) | instid1(VALU_DEP_4)
	v_fma_f64 v[60:61], v[48:49], v[54:55], v[2:3]
	v_add_co_u32 v2, vcc_lo, 0x7000, v76
	v_add_co_ci_u32_e32 v3, vcc_lo, 0, v77, vcc_lo
	v_fma_f64 v[62:63], v[50:51], v[54:55], -v[52:53]
	global_load_b128 v[48:51], v[0:1], off
	v_add_co_u32 v0, vcc_lo, v0, s3
	global_load_b128 v[54:57], v[2:3], off offset:2432
	v_add_co_ci_u32_e32 v1, vcc_lo, s2, v1, vcc_lo
	s_waitcnt vmcnt(0)
	v_mul_f64 v[2:3], v[50:51], v[56:57]
	v_mul_f64 v[52:53], v[48:49], v[56:57]
	scratch_store_b128 off, v[54:57], off offset:184 ; 16-byte Folded Spill
	v_fma_f64 v[64:65], v[48:49], v[54:55], v[2:3]
	v_add_co_u32 v2, vcc_lo, 0xa000, v76
	v_add_co_ci_u32_e32 v3, vcc_lo, 0, v77, vcc_lo
	v_fma_f64 v[66:67], v[50:51], v[54:55], -v[52:53]
	global_load_b128 v[48:51], v[0:1], off
	v_add_co_u32 v0, vcc_lo, v0, s3
	global_load_b128 v[54:57], v[2:3], off offset:1808
	v_add_co_ci_u32_e32 v1, vcc_lo, s2, v1, vcc_lo
	s_waitcnt vmcnt(0)
	v_mul_f64 v[2:3], v[50:51], v[56:57]
	v_mul_f64 v[52:53], v[48:49], v[56:57]
	scratch_store_b128 off, v[54:57], off offset:216 ; 16-byte Folded Spill
	v_fma_f64 v[68:69], v[48:49], v[54:55], v[2:3]
	v_add_co_u32 v2, vcc_lo, 0xd000, v76
	v_add_co_ci_u32_e32 v3, vcc_lo, 0, v77, vcc_lo
	v_fma_f64 v[70:71], v[50:51], v[54:55], -v[52:53]
	global_load_b128 v[48:51], v[0:1], off
	v_cmp_gt_u16_e64 vcc_lo, 0x87, v158
	global_load_b128 v[52:55], v[2:3], off offset:1184
	s_waitcnt vmcnt(0)
	v_mul_f64 v[0:1], v[50:51], v[54:55]
	v_mul_f64 v[2:3], v[48:49], v[54:55]
	scratch_store_b128 off, v[52:55], off offset:232 ; 16-byte Folded Spill
	v_fma_f64 v[48:49], v[48:49], v[52:53], v[0:1]
	v_fma_f64 v[50:51], v[50:51], v[52:53], -v[2:3]
	ds_store_b128 v75, v[16:19]
	ds_store_b128 v75, v[24:27] offset:3888
	ds_store_b128 v75, v[8:11] offset:23328
	;; [unrolled: 1-line block ×14, first 2 shown]
	s_load_b128 s[4:7], s[6:7], 0x0
	s_waitcnt lgkmcnt(0)
	s_waitcnt_vscnt null, 0x0
	s_barrier
	buffer_gl0_inv
	ds_load_b128 v[3:6], v75 offset:11664
	ds_load_b128 v[8:11], v75
	ds_load_b128 v[12:15], v75 offset:3888
	ds_load_b128 v[16:19], v75 offset:7776
	;; [unrolled: 1-line block ×6, first 2 shown]
	s_waitcnt lgkmcnt(6)
	v_add_f64 v[0:1], v[8:9], v[3:4]
	v_add_f64 v[36:37], v[10:11], v[5:6]
	s_waitcnt lgkmcnt(3)
	v_add_f64 v[40:41], v[3:4], v[20:21]
	v_add_f64 v[42:43], v[5:6], -v[22:23]
	v_add_f64 v[52:53], v[5:6], v[22:23]
	s_waitcnt lgkmcnt(1)
	v_add_f64 v[54:55], v[3:4], -v[28:29]
	v_add_f64 v[59:60], v[28:29], -v[3:4]
	;; [unrolled: 1-line block ×5, first 2 shown]
	v_add_f64 v[0:1], v[0:1], v[28:29]
	v_add_f64 v[44:45], v[36:37], v[30:31]
	ds_load_b128 v[3:6], v75 offset:34992
	ds_load_b128 v[36:39], v75 offset:38880
	s_waitcnt lgkmcnt(1)
	v_add_f64 v[65:66], v[28:29], v[3:4]
	v_add_f64 v[78:79], v[28:29], -v[3:4]
	v_add_f64 v[71:72], v[30:31], v[5:6]
	v_add_f64 v[73:74], v[30:31], -v[5:6]
	v_add_f64 v[80:81], v[20:21], -v[3:4]
	;; [unrolled: 1-line block ×5, first 2 shown]
	s_waitcnt lgkmcnt(0)
	v_add_f64 v[104:105], v[32:33], v[36:37]
	v_add_f64 v[106:107], v[34:35], v[38:39]
	;; [unrolled: 1-line block ×4, first 2 shown]
	s_delay_alu instid0(VALU_DEP_2) | instskip(NEXT) | instid1(VALU_DEP_2)
	v_add_f64 v[44:45], v[0:1], v[20:21]
	v_add_f64 v[46:47], v[28:29], v[22:23]
	ds_load_b128 v[3:6], v75 offset:15552
	ds_load_b128 v[20:23], v75 offset:19440
	;; [unrolled: 1-line block ×4, first 2 shown]
	s_waitcnt lgkmcnt(3)
	v_add_f64 v[0:1], v[12:13], v[3:4]
	v_add_f64 v[67:68], v[14:15], v[5:6]
	s_waitcnt lgkmcnt(1)
	v_add_f64 v[88:89], v[3:4], v[28:29]
	v_add_f64 v[94:95], v[3:4], -v[32:33]
	v_add_f64 v[96:97], v[32:33], -v[3:4]
	;; [unrolled: 1-line block ×3, first 2 shown]
	v_add_f64 v[90:91], v[5:6], v[30:31]
	v_add_f64 v[92:93], v[5:6], -v[30:31]
	v_add_f64 v[100:101], v[5:6], -v[34:35]
	;; [unrolled: 1-line block ×5, first 2 shown]
	s_waitcnt lgkmcnt(0)
	v_add_f64 v[112:113], v[22:23], v[50:51]
	v_add_f64 v[114:115], v[22:23], -v[50:51]
	v_add_f64 v[118:119], v[20:21], -v[48:49]
	;; [unrolled: 1-line block ×4, first 2 shown]
	v_add_f64 v[0:1], v[0:1], v[32:33]
	v_add_f64 v[2:3], v[67:68], v[34:35]
	v_add_f64 v[32:33], v[32:33], -v[36:37]
	v_add_f64 v[34:35], v[34:35], -v[38:39]
	s_delay_alu instid0(VALU_DEP_4) | instskip(NEXT) | instid1(VALU_DEP_4)
	v_add_f64 v[0:1], v[0:1], v[36:37]
	v_add_f64 v[2:3], v[2:3], v[38:39]
	v_add_f64 v[36:37], v[36:37], -v[28:29]
	v_add_f64 v[38:39], v[38:39], -v[30:31]
	s_delay_alu instid0(VALU_DEP_4)
	v_add_f64 v[67:68], v[0:1], v[28:29]
	v_add_f64 v[0:1], v[16:17], v[20:21]
	;; [unrolled: 1-line block ×3, first 2 shown]
	ds_load_b128 v[3:6], v75 offset:31104
	v_add_f64 v[28:29], v[18:19], v[22:23]
	v_add_f64 v[30:31], v[20:21], v[48:49]
	s_waitcnt lgkmcnt(0)
	v_add_f64 v[116:117], v[20:21], -v[3:4]
	v_add_f64 v[120:121], v[3:4], -v[20:21]
	v_add_f64 v[122:123], v[22:23], -v[5:6]
	v_add_f64 v[124:125], v[5:6], -v[22:23]
	v_add_f64 v[22:23], v[3:4], v[24:25]
	v_add_f64 v[126:127], v[5:6], -v[26:27]
	v_add_f64 v[0:1], v[0:1], v[3:4]
	v_add_f64 v[2:3], v[3:4], -v[24:25]
	v_add_f64 v[20:21], v[28:29], v[5:6]
	v_add_f64 v[28:29], v[5:6], v[26:27]
	v_fma_f64 v[30:31], v[30:31], -0.5, v[16:17]
	v_add_f64 v[0:1], v[0:1], v[24:25]
	v_add_f64 v[24:25], v[24:25], -v[48:49]
	v_add_f64 v[6:7], v[20:21], v[26:27]
	v_fma_f64 v[20:21], v[71:72], -0.5, v[10:11]
	v_fma_f64 v[71:72], v[90:91], -0.5, v[14:15]
	;; [unrolled: 1-line block ×4, first 2 shown]
	v_add_f64 v[26:27], v[26:27], -v[50:51]
	v_fma_f64 v[10:11], v[52:53], -0.5, v[10:11]
	v_add_f64 v[4:5], v[0:1], v[48:49]
	v_fma_f64 v[0:1], v[65:66], -0.5, v[8:9]
	v_fma_f64 v[8:9], v[40:41], -0.5, v[8:9]
	v_fma_f64 v[40:41], v[104:105], -0.5, v[12:13]
	v_fma_f64 v[48:49], v[88:89], -0.5, v[12:13]
	v_fma_f64 v[12:13], v[106:107], -0.5, v[14:15]
	v_add_f64 v[14:15], v[54:55], v[80:81]
	v_add_f64 v[6:7], v[6:7], v[50:51]
	v_fma_f64 v[88:89], v[22:23], -0.5, v[16:17]
	v_fma_f64 v[22:23], v[61:62], s[20:21], v[20:21]
	v_add_f64 v[16:17], v[56:57], v[84:85]
	v_add_co_u32 v84, null, 0x1e6, v132
	v_fma_f64 v[18:19], v[42:43], s[18:19], v[0:1]
	v_fma_f64 v[0:1], v[42:43], s[20:21], v[0:1]
	;; [unrolled: 1-line block ×3, first 2 shown]
	s_delay_alu instid0(VALU_DEP_3) | instskip(NEXT) | instid1(VALU_DEP_3)
	v_fma_f64 v[18:19], v[73:74], s[12:13], v[18:19]
	v_fma_f64 v[0:1], v[73:74], s[14:15], v[0:1]
	s_delay_alu instid0(VALU_DEP_3) | instskip(SKIP_1) | instid1(VALU_DEP_4)
	v_fma_f64 v[53:54], v[16:17], s[16:17], v[22:23]
	v_add_f64 v[22:23], v[96:97], v[36:37]
	v_fma_f64 v[51:52], v[14:15], s[16:17], v[18:19]
	v_fma_f64 v[18:19], v[61:62], s[18:19], v[20:21]
	;; [unrolled: 1-line block ×14, first 2 shown]
	v_add_f64 v[42:43], v[122:123], v[130:131]
	v_fma_f64 v[57:58], v[16:17], s[16:17], v[18:19]
	v_add_f64 v[16:17], v[59:60], v[82:83]
	v_add_f64 v[18:19], v[63:64], v[86:87]
	s_delay_alu instid0(VALU_DEP_2)
	v_fma_f64 v[59:60], v[16:17], s[16:17], v[0:1]
	v_fma_f64 v[63:64], v[16:17], s[16:17], v[8:9]
	;; [unrolled: 1-line block ×7, first 2 shown]
	v_add_f64 v[0:1], v[94:95], v[108:109]
	v_fma_f64 v[61:62], v[18:19], s[16:17], v[14:15]
	v_add_f64 v[14:15], v[100:101], v[110:111]
	v_add_f64 v[40:41], v[116:117], v[128:129]
	v_fma_f64 v[8:9], v[34:35], s[12:13], v[8:9]
	v_fma_f64 v[16:17], v[34:35], s[14:15], v[16:17]
	;; [unrolled: 1-line block ×4, first 2 shown]
	s_delay_alu instid0(VALU_DEP_4) | instskip(NEXT) | instid1(VALU_DEP_4)
	v_fma_f64 v[8:9], v[0:1], s[16:17], v[8:9]
	v_fma_f64 v[12:13], v[0:1], s[16:17], v[16:17]
	;; [unrolled: 1-line block ×7, first 2 shown]
	v_add_f64 v[32:33], v[102:103], v[38:39]
	v_fma_f64 v[0:1], v[92:93], s[12:13], v[0:1]
	s_delay_alu instid0(VALU_DEP_4) | instskip(NEXT) | instid1(VALU_DEP_4)
	v_fma_f64 v[34:35], v[92:93], s[14:15], v[16:17]
	v_fma_f64 v[18:19], v[98:99], s[14:15], v[18:19]
	v_mov_b32_e32 v99, v132
	v_and_b32_e32 v73, 0xff, v158
	v_fma_f64 v[16:17], v[22:23], s[16:17], v[0:1]
	v_add_f64 v[0:1], v[120:121], v[24:25]
	v_fma_f64 v[24:25], v[126:127], s[20:21], v[30:31]
	v_fma_f64 v[30:31], v[126:127], s[18:19], v[30:31]
	;; [unrolled: 1-line block ×5, first 2 shown]
	v_add_f64 v[32:33], v[124:125], v[26:27]
	v_fma_f64 v[26:27], v[2:3], s[18:19], v[28:29]
	v_fma_f64 v[28:29], v[2:3], s[20:21], v[28:29]
	;; [unrolled: 1-line block ×7, first 2 shown]
	s_delay_alu instid0(VALU_DEP_4) | instskip(NEXT) | instid1(VALU_DEP_4)
	v_fma_f64 v[24:25], v[0:1], s[16:17], v[24:25]
	v_fma_f64 v[28:29], v[0:1], s[16:17], v[30:31]
	;; [unrolled: 1-line block ×8, first 2 shown]
	s_delay_alu instid0(VALU_DEP_3) | instskip(NEXT) | instid1(VALU_DEP_3)
	v_fma_f64 v[32:33], v[126:127], s[14:15], v[32:33]
	v_fma_f64 v[34:35], v[2:3], s[14:15], v[34:35]
	v_fma_f64 v[2:3], v[2:3], s[12:13], v[36:37]
	s_delay_alu instid0(VALU_DEP_4) | instskip(SKIP_1) | instid1(VALU_DEP_1)
	v_fma_f64 v[36:37], v[40:41], s[16:17], v[0:1]
	v_mul_lo_u16 v0, v158, 5
	v_and_b32_e32 v0, 0xffff, v0
	v_fma_f64 v[32:33], v[40:41], s[16:17], v[32:33]
	v_add_co_u32 v41, s2, 0xf3, v132
	v_fma_f64 v[38:39], v[42:43], s[16:17], v[34:35]
	s_delay_alu instid0(VALU_DEP_4)
	v_lshlrev_b32_e32 v0, 4, v0
	v_fma_f64 v[34:35], v[42:43], s[16:17], v[2:3]
	scratch_store_b32 off, v0, off offset:248 ; 4-byte Folded Spill
	s_waitcnt_vscnt null, 0x0
	s_barrier
	buffer_gl0_inv
	ds_store_b128 v0, v[44:47]
	ds_store_b128 v0, v[51:54] offset:16
	ds_store_b128 v0, v[59:62] offset:32
	;; [unrolled: 1-line block ×4, first 2 shown]
	v_mul_u32_u24_e32 v0, 5, v41
	v_and_b32_e32 v64, 0xffff, v84
	v_and_b32_e32 v63, 0xffff, v41
	;; [unrolled: 1-line block ×3, first 2 shown]
	v_add_co_u32 v59, null, 0x3cc, v132
	v_lshlrev_b32_e32 v0, 4, v0
	v_add_co_ci_u32_e64 v60, null, 0, 0, s2
	s_delay_alu instid0(VALU_DEP_3)
	v_and_b32_e32 v61, 0xffff, v59
	s_mov_b32 s2, 0xe8584caa
	scratch_store_b32 off, v0, off offset:836 ; 4-byte Folded Spill
	ds_store_b128 v0, v[67:70]
	ds_store_b128 v0, v[8:11] offset:16
	ds_store_b128 v0, v[16:19] offset:32
	;; [unrolled: 1-line block ×4, first 2 shown]
	v_mul_u32_u24_e32 v0, 5, v84
	s_mov_b32 s3, 0x3febb67a
	s_mov_b32 s8, s2
	s_delay_alu instid0(VALU_DEP_1)
	v_lshlrev_b32_e32 v157, 4, v0
	v_mul_lo_u16 v0, 0xcd, v73
	ds_store_b128 v157, v[4:7]
	ds_store_b128 v157, v[36:39] offset:16
	ds_store_b128 v157, v[24:27] offset:32
	;; [unrolled: 1-line block ×4, first 2 shown]
	v_lshrrev_b16 v42, 10, v0
	s_waitcnt lgkmcnt(0)
	s_waitcnt_vscnt null, 0x0
	s_barrier
	buffer_gl0_inv
	v_mul_lo_u16 v0, v42, 5
	s_delay_alu instid0(VALU_DEP_1) | instskip(NEXT) | instid1(VALU_DEP_1)
	v_sub_nc_u16 v0, v158, v0
	v_and_b32_e32 v74, 0xff, v0
	s_delay_alu instid0(VALU_DEP_1)
	v_lshlrev_b32_e32 v0, 5, v74
	s_clause 0x1
	global_load_b128 v[176:179], v0, s[10:11]
	global_load_b128 v[180:183], v0, s[10:11] offset:16
	ds_load_b128 v[3:6], v75 offset:19440
	ds_load_b128 v[43:46], v75 offset:15552
	s_waitcnt vmcnt(1) lgkmcnt(1)
	v_mul_f64 v[0:1], v[5:6], v[178:179]
	s_delay_alu instid0(VALU_DEP_1) | instskip(SKIP_1) | instid1(VALU_DEP_1)
	v_fma_f64 v[0:1], v[3:4], v[176:177], -v[0:1]
	v_mul_f64 v[2:3], v[3:4], v[178:179]
	v_fma_f64 v[15:16], v[5:6], v[176:177], v[2:3]
	ds_load_b128 v[3:6], v75 offset:38880
	ds_load_b128 v[51:54], v75 offset:34992
	s_waitcnt vmcnt(0) lgkmcnt(1)
	v_mul_f64 v[7:8], v[5:6], v[182:183]
	s_delay_alu instid0(VALU_DEP_1) | instskip(SKIP_1) | instid1(VALU_DEP_2)
	v_fma_f64 v[17:18], v[3:4], v[180:181], -v[7:8]
	v_mul_f64 v[2:3], v[3:4], v[182:183]
	v_add_f64 v[47:48], v[0:1], v[17:18]
	s_delay_alu instid0(VALU_DEP_2) | instskip(SKIP_1) | instid1(VALU_DEP_1)
	v_fma_f64 v[19:20], v[5:6], v[180:181], v[2:3]
	v_mul_u32_u24_e32 v2, 0xcccd, v63
	v_lshrrev_b32_e32 v82, 18, v2
	s_delay_alu instid0(VALU_DEP_1) | instskip(NEXT) | instid1(VALU_DEP_1)
	v_mul_lo_u16 v2, v82, 5
	v_sub_nc_u16 v83, v41, v2
	s_delay_alu instid0(VALU_DEP_1) | instskip(NEXT) | instid1(VALU_DEP_1)
	v_lshlrev_b16 v2, 1, v83
	v_and_b32_e32 v2, 0xffff, v2
	s_delay_alu instid0(VALU_DEP_1)
	v_lshlrev_b32_e32 v2, 4, v2
	s_clause 0x1
	global_load_b128 v[168:171], v2, s[10:11]
	global_load_b128 v[172:175], v2, s[10:11] offset:16
	ds_load_b128 v[3:6], v75 offset:23328
	ds_load_b128 v[7:10], v75 offset:27216
	v_add_f64 v[49:50], v[15:16], v[19:20]
	s_waitcnt vmcnt(1) lgkmcnt(1)
	v_mul_f64 v[11:12], v[5:6], v[170:171]
	s_delay_alu instid0(VALU_DEP_1) | instskip(SKIP_1) | instid1(VALU_DEP_1)
	v_fma_f64 v[21:22], v[3:4], v[168:169], -v[11:12]
	v_mul_f64 v[2:3], v[3:4], v[170:171]
	v_fma_f64 v[23:24], v[5:6], v[168:169], v[2:3]
	ds_load_b128 v[3:6], v75 offset:42768
	ds_load_b128 v[11:14], v75 offset:46656
	s_waitcnt vmcnt(0) lgkmcnt(1)
	v_mul_f64 v[25:26], v[5:6], v[174:175]
	s_delay_alu instid0(VALU_DEP_1) | instskip(SKIP_1) | instid1(VALU_DEP_1)
	v_fma_f64 v[25:26], v[3:4], v[172:173], -v[25:26]
	v_mul_f64 v[2:3], v[3:4], v[174:175]
	v_fma_f64 v[27:28], v[5:6], v[172:173], v[2:3]
	v_mul_u32_u24_e32 v2, 0xcccd, v64
	s_delay_alu instid0(VALU_DEP_1) | instskip(NEXT) | instid1(VALU_DEP_1)
	v_lshrrev_b32_e32 v89, 18, v2
	v_mul_lo_u16 v2, v89, 5
	s_delay_alu instid0(VALU_DEP_1) | instskip(NEXT) | instid1(VALU_DEP_1)
	v_sub_nc_u16 v90, v84, v2
	v_lshlrev_b16 v2, 1, v90
	s_delay_alu instid0(VALU_DEP_1) | instskip(NEXT) | instid1(VALU_DEP_1)
	v_and_b32_e32 v2, 0xffff, v2
	v_lshlrev_b32_e32 v2, 4, v2
	s_clause 0x1
	global_load_b128 v[160:163], v2, s[10:11]
	global_load_b128 v[164:167], v2, s[10:11] offset:16
	s_waitcnt vmcnt(1)
	v_mul_f64 v[2:3], v[9:10], v[162:163]
	s_delay_alu instid0(VALU_DEP_1) | instskip(SKIP_1) | instid1(VALU_DEP_1)
	v_fma_f64 v[29:30], v[7:8], v[160:161], -v[2:3]
	v_mul_f64 v[2:3], v[7:8], v[162:163]
	v_fma_f64 v[7:8], v[9:10], v[160:161], v[2:3]
	s_waitcnt vmcnt(0) lgkmcnt(0)
	v_mul_f64 v[2:3], v[13:14], v[166:167]
	s_delay_alu instid0(VALU_DEP_1) | instskip(SKIP_1) | instid1(VALU_DEP_1)
	v_fma_f64 v[9:10], v[11:12], v[164:165], -v[2:3]
	v_mul_f64 v[2:3], v[11:12], v[166:167]
	v_fma_f64 v[11:12], v[13:14], v[164:165], v[2:3]
	v_mul_u32_u24_e32 v2, 0xcccd, v62
	s_delay_alu instid0(VALU_DEP_1) | instskip(NEXT) | instid1(VALU_DEP_1)
	v_lshrrev_b32_e32 v91, 18, v2
	v_mul_lo_u16 v2, v91, 5
	s_delay_alu instid0(VALU_DEP_1) | instskip(NEXT) | instid1(VALU_DEP_1)
	v_sub_nc_u16 v92, v159, v2
	v_lshlrev_b16 v2, 1, v92
	s_delay_alu instid0(VALU_DEP_1) | instskip(NEXT) | instid1(VALU_DEP_1)
	v_and_b32_e32 v2, 0xffff, v2
	v_lshlrev_b32_e32 v2, 4, v2
	s_clause 0x1
	global_load_b128 v[149:152], v2, s[10:11]
	global_load_b128 v[153:156], v2, s[10:11] offset:16
	ds_load_b128 v[3:6], v75 offset:31104
	s_waitcnt vmcnt(1) lgkmcnt(0)
	v_mul_f64 v[13:14], v[5:6], v[151:152]
	s_delay_alu instid0(VALU_DEP_1) | instskip(SKIP_1) | instid1(VALU_DEP_1)
	v_fma_f64 v[13:14], v[3:4], v[149:150], -v[13:14]
	v_mul_f64 v[2:3], v[3:4], v[151:152]
	v_fma_f64 v[31:32], v[5:6], v[149:150], v[2:3]
	ds_load_b128 v[3:6], v75 offset:50544
	ds_load_b128 v[55:58], v75 offset:54432
	s_waitcnt vmcnt(0) lgkmcnt(1)
	v_mul_f64 v[33:34], v[5:6], v[155:156]
	s_delay_alu instid0(VALU_DEP_1) | instskip(SKIP_2) | instid1(VALU_DEP_1)
	v_fma_f64 v[33:34], v[3:4], v[153:154], -v[33:34]
	v_mul_f64 v[2:3], v[3:4], v[155:156]
	v_mul_u32_u24_e32 v4, 0xcccd, v61
	v_lshrrev_b32_e32 v97, 18, v4
	s_delay_alu instid0(VALU_DEP_1) | instskip(NEXT) | instid1(VALU_DEP_1)
	v_mul_lo_u16 v4, v97, 5
	v_sub_nc_u16 v98, v59, v4
	s_delay_alu instid0(VALU_DEP_1) | instskip(NEXT) | instid1(VALU_DEP_1)
	v_lshlrev_b16 v4, 1, v98
	v_and_b32_e32 v4, 0xffff, v4
	s_delay_alu instid0(VALU_DEP_1)
	v_lshlrev_b32_e32 v4, 4, v4
	s_clause 0x1
	global_load_b128 v[141:144], v4, s[10:11]
	global_load_b128 v[145:148], v4, s[10:11] offset:16
	v_fma_f64 v[2:3], v[5:6], v[153:154], v[2:3]
	s_waitcnt vmcnt(1)
	v_mul_f64 v[4:5], v[53:54], v[143:144]
	v_mul_f64 v[35:36], v[51:52], v[143:144]
	s_waitcnt vmcnt(0) lgkmcnt(0)
	v_mul_f64 v[37:38], v[57:58], v[147:148]
	v_mul_f64 v[39:40], v[55:56], v[147:148]
	s_delay_alu instid0(VALU_DEP_4) | instskip(NEXT) | instid1(VALU_DEP_4)
	v_fma_f64 v[4:5], v[51:52], v[141:142], -v[4:5]
	v_fma_f64 v[35:36], v[53:54], v[141:142], v[35:36]
	s_delay_alu instid0(VALU_DEP_4) | instskip(NEXT) | instid1(VALU_DEP_4)
	v_fma_f64 v[37:38], v[55:56], v[145:146], -v[37:38]
	v_fma_f64 v[39:40], v[57:58], v[145:146], v[39:40]
	ds_load_b128 v[51:54], v75
	ds_load_b128 v[55:58], v75 offset:3888
	s_waitcnt lgkmcnt(1)
	v_fma_f64 v[47:48], v[47:48], -0.5, v[51:52]
	v_fma_f64 v[49:50], v[49:50], -0.5, v[53:54]
	v_add_f64 v[51:52], v[51:52], v[0:1]
	v_add_f64 v[0:1], v[0:1], -v[17:18]
	v_add_f64 v[53:54], v[53:54], v[15:16]
	v_add_f64 v[15:16], v[15:16], -v[19:20]
	s_delay_alu instid0(VALU_DEP_4) | instskip(NEXT) | instid1(VALU_DEP_4)
	v_add_f64 v[51:52], v[51:52], v[17:18]
	v_fma_f64 v[67:68], v[0:1], s[8:9], v[49:50]
	v_fma_f64 v[71:72], v[0:1], s[2:3], v[49:50]
	v_add_f64 v[0:1], v[21:22], v[25:26]
	v_fma_f64 v[65:66], v[15:16], s[2:3], v[47:48]
	v_fma_f64 v[69:70], v[15:16], s[8:9], v[47:48]
	v_add_f64 v[15:16], v[23:24], v[27:28]
	s_waitcnt lgkmcnt(0)
	v_add_f64 v[17:18], v[57:58], v[23:24]
	v_add_f64 v[23:24], v[23:24], -v[27:28]
	v_add_f64 v[53:54], v[53:54], v[19:20]
	v_add_f64 v[19:20], v[55:56], v[21:22]
	v_fma_f64 v[0:1], v[0:1], -0.5, v[55:56]
	v_fma_f64 v[15:16], v[15:16], -0.5, v[57:58]
	v_add_f64 v[80:81], v[17:18], v[27:28]
	v_add_f64 v[17:18], v[21:22], -v[25:26]
	ds_load_b128 v[55:58], v75 offset:7776
	ds_load_b128 v[101:104], v75 offset:11664
	v_add_f64 v[78:79], v[19:20], v[25:26]
	s_waitcnt lgkmcnt(1)
	v_add_f64 v[19:20], v[55:56], v[29:30]
	v_fma_f64 v[85:86], v[23:24], s[2:3], v[0:1]
	v_fma_f64 v[93:94], v[23:24], s[8:9], v[0:1]
	v_add_f64 v[0:1], v[29:30], v[9:10]
	v_mul_u32_u24_e32 v24, 0x8889, v62
	v_fma_f64 v[87:88], v[17:18], s[8:9], v[15:16]
	v_fma_f64 v[95:96], v[17:18], s[2:3], v[15:16]
	v_add_f64 v[15:16], v[7:8], v[11:12]
	v_add_f64 v[17:18], v[57:58], v[7:8]
	v_add_f64 v[6:7], v[7:8], -v[11:12]
	v_add_f64 v[105:106], v[19:20], v[9:10]
	v_add_f64 v[8:9], v[29:30], -v[9:10]
	v_fma_f64 v[0:1], v[0:1], -0.5, v[55:56]
	v_fma_f64 v[15:16], v[15:16], -0.5, v[57:58]
	v_add_f64 v[107:108], v[17:18], v[11:12]
	s_waitcnt lgkmcnt(0)
	v_add_f64 v[10:11], v[101:102], v[13:14]
	s_delay_alu instid0(VALU_DEP_4)
	v_fma_f64 v[109:110], v[6:7], s[2:3], v[0:1]
	v_fma_f64 v[113:114], v[6:7], s[8:9], v[0:1]
	v_add_f64 v[0:1], v[13:14], v[33:34]
	v_add_f64 v[6:7], v[31:32], v[2:3]
	v_fma_f64 v[111:112], v[8:9], s[8:9], v[15:16]
	v_fma_f64 v[115:116], v[8:9], s[2:3], v[15:16]
	v_add_f64 v[8:9], v[103:104], v[31:32]
	v_add_f64 v[15:16], v[31:32], -v[2:3]
	v_mul_u32_u24_e32 v32, 0x8889, v61
	v_fma_f64 v[0:1], v[0:1], -0.5, v[101:102]
	v_fma_f64 v[6:7], v[6:7], -0.5, v[103:104]
	v_add_f64 v[101:102], v[10:11], v[33:34]
	v_add_f64 v[10:11], v[35:36], -v[39:40]
	v_add_f64 v[103:104], v[8:9], v[2:3]
	v_add_f64 v[2:3], v[13:14], -v[33:34]
	v_add_f64 v[8:9], v[43:44], v[4:5]
	v_fma_f64 v[117:118], v[15:16], s[2:3], v[0:1]
	v_fma_f64 v[121:122], v[15:16], s[8:9], v[0:1]
	v_add_f64 v[0:1], v[4:5], v[37:38]
	v_add_f64 v[4:5], v[4:5], -v[37:38]
	v_mul_u32_u24_e32 v16, 0x8889, v64
	v_fma_f64 v[119:120], v[2:3], s[8:9], v[6:7]
	v_fma_f64 v[123:124], v[2:3], s[2:3], v[6:7]
	v_add_f64 v[2:3], v[35:36], v[39:40]
	v_add_f64 v[6:7], v[45:46], v[35:36]
	v_lshrrev_b32_e32 v57, 19, v16
	s_delay_alu instid0(VALU_DEP_1) | instskip(NEXT) | instid1(VALU_DEP_1)
	v_mul_lo_u16 v16, v57, 15
	v_sub_nc_u16 v58, v84, v16
	s_delay_alu instid0(VALU_DEP_1) | instskip(NEXT) | instid1(VALU_DEP_1)
	v_lshlrev_b16 v16, 5, v58
	v_and_b32_e32 v16, 0xffff, v16
	v_fma_f64 v[0:1], v[0:1], -0.5, v[43:44]
	v_add_f64 v[43:44], v[8:9], v[37:38]
	v_mul_u32_u24_e32 v8, 0x8889, v63
	v_fma_f64 v[2:3], v[2:3], -0.5, v[45:46]
	v_add_f64 v[45:46], v[6:7], v[39:40]
	s_delay_alu instid0(VALU_DEP_3) | instskip(NEXT) | instid1(VALU_DEP_1)
	v_lshrrev_b32_e32 v55, 19, v8
	v_mul_lo_u16 v8, v55, 15
	s_delay_alu instid0(VALU_DEP_1) | instskip(NEXT) | instid1(VALU_DEP_1)
	v_sub_nc_u16 v56, v41, v8
	v_lshlrev_b16 v8, 5, v56
	s_delay_alu instid0(VALU_DEP_1) | instskip(NEXT) | instid1(VALU_DEP_1)
	v_and_b32_e32 v8, 0xffff, v8
	v_add_co_u32 v8, s22, s10, v8
	s_delay_alu instid0(VALU_DEP_1)
	v_add_co_ci_u32_e64 v9, null, s11, 0, s22
	v_add_co_u32 v16, s22, s10, v16
	v_fma_f64 v[125:126], v[10:11], s[2:3], v[0:1]
	v_fma_f64 v[129:130], v[10:11], s[8:9], v[0:1]
	v_and_b32_e32 v0, 0xffff, v42
	v_add_co_ci_u32_e64 v17, null, s11, 0, s22
	v_fma_f64 v[127:128], v[4:5], s[8:9], v[2:3]
	v_fma_f64 v[131:132], v[4:5], s[2:3], v[2:3]
	s_delay_alu instid0(VALU_DEP_4) | instskip(NEXT) | instid1(VALU_DEP_1)
	v_mul_u32_u24_e32 v0, 15, v0
	v_add_lshl_u32 v0, v0, v74, 4
	v_lshrrev_b32_e32 v74, 19, v24
	scratch_store_b32 off, v0, off offset:832 ; 4-byte Folded Spill
	s_waitcnt_vscnt null, 0x0
	s_barrier
	buffer_gl0_inv
	ds_store_b128 v0, v[51:54]
	ds_store_b128 v0, v[65:68] offset:80
	ds_store_b128 v0, v[69:72] offset:160
	v_mad_u16 v0, v82, 15, v83
	v_mul_lo_u16 v24, v74, 15
	v_lshrrev_b32_e32 v83, 19, v32
	s_delay_alu instid0(VALU_DEP_3) | instskip(NEXT) | instid1(VALU_DEP_3)
	v_and_b32_e32 v0, 0xffff, v0
	v_sub_nc_u16 v82, v159, v24
	s_delay_alu instid0(VALU_DEP_3) | instskip(NEXT) | instid1(VALU_DEP_3)
	v_mul_lo_u16 v32, v83, 15
	v_lshlrev_b32_e32 v0, 4, v0
	s_delay_alu instid0(VALU_DEP_3)
	v_lshlrev_b16 v24, 5, v82
	scratch_store_b32 off, v0, off offset:828 ; 4-byte Folded Spill
	ds_store_b128 v0, v[78:81]
	ds_store_b128 v0, v[85:88] offset:80
	ds_store_b128 v0, v[93:96] offset:160
	v_mad_u16 v0, v89, 15, v90
	v_and_b32_e32 v24, 0xffff, v24
	v_sub_nc_u16 v89, v59, v32
	s_delay_alu instid0(VALU_DEP_3) | instskip(NEXT) | instid1(VALU_DEP_3)
	v_and_b32_e32 v0, 0xffff, v0
	v_add_co_u32 v24, s22, s10, v24
	s_delay_alu instid0(VALU_DEP_1) | instskip(NEXT) | instid1(VALU_DEP_3)
	v_add_co_ci_u32_e64 v25, null, s11, 0, s22
	v_lshlrev_b32_e32 v0, 4, v0
	v_lshlrev_b16 v32, 5, v89
	scratch_store_b32 off, v0, off offset:824 ; 4-byte Folded Spill
	ds_store_b128 v0, v[105:108]
	ds_store_b128 v0, v[109:112] offset:80
	ds_store_b128 v0, v[113:116] offset:160
	v_mad_u16 v0, v91, 15, v92
	v_and_b32_e32 v32, 0xffff, v32
	s_delay_alu instid0(VALU_DEP_2) | instskip(NEXT) | instid1(VALU_DEP_2)
	v_and_b32_e32 v0, 0xffff, v0
	v_add_co_u32 v32, s22, s10, v32
	s_delay_alu instid0(VALU_DEP_1) | instskip(NEXT) | instid1(VALU_DEP_3)
	v_add_co_ci_u32_e64 v33, null, s11, 0, s22
	v_lshlrev_b32_e32 v0, 4, v0
	scratch_store_b32 off, v0, off offset:820 ; 4-byte Folded Spill
	ds_store_b128 v0, v[101:104]
	ds_store_b128 v0, v[117:120] offset:80
	ds_store_b128 v0, v[121:124] offset:160
	v_mad_u16 v0, v97, 15, v98
	s_delay_alu instid0(VALU_DEP_1) | instskip(NEXT) | instid1(VALU_DEP_1)
	v_and_b32_e32 v0, 0xffff, v0
	v_lshlrev_b32_e32 v0, 4, v0
	scratch_store_b32 off, v0, off offset:816 ; 4-byte Folded Spill
	ds_store_b128 v0, v[43:46]
	ds_store_b128 v0, v[125:128] offset:80
	ds_store_b128 v0, v[129:132] offset:160
	v_mul_lo_u16 v0, 0x89, v73
	s_waitcnt lgkmcnt(0)
	s_waitcnt_vscnt null, 0x0
	s_barrier
	buffer_gl0_inv
	v_lshrrev_b16 v40, 11, v0
	s_delay_alu instid0(VALU_DEP_1) | instskip(NEXT) | instid1(VALU_DEP_1)
	v_mul_lo_u16 v0, v40, 15
	v_sub_nc_u16 v0, v158, v0
	s_delay_alu instid0(VALU_DEP_1) | instskip(NEXT) | instid1(VALU_DEP_1)
	v_and_b32_e32 v50, 0xff, v0
	v_lshlrev_b32_e32 v0, 5, v50
	s_clause 0x1
	global_load_b128 v[224:227], v0, s[10:11] offset:160
	global_load_b128 v[220:223], v0, s[10:11] offset:176
	ds_load_b128 v[43:46], v75 offset:19440
	ds_load_b128 v[51:54], v75 offset:15552
	s_waitcnt vmcnt(1) lgkmcnt(1)
	v_mul_f64 v[0:1], v[45:46], v[226:227]
	v_mul_f64 v[2:3], v[43:44], v[226:227]
	s_delay_alu instid0(VALU_DEP_2) | instskip(NEXT) | instid1(VALU_DEP_2)
	v_fma_f64 v[0:1], v[43:44], v[224:225], -v[0:1]
	v_fma_f64 v[2:3], v[45:46], v[224:225], v[2:3]
	ds_load_b128 v[43:46], v75 offset:38880
	ds_load_b128 v[65:68], v75 offset:34992
	s_clause 0x1
	global_load_b128 v[232:235], v[8:9], off offset:160
	global_load_b128 v[228:231], v[8:9], off offset:176
	s_waitcnt vmcnt(2) lgkmcnt(1)
	v_mul_f64 v[4:5], v[45:46], v[222:223]
	v_mul_f64 v[6:7], v[43:44], v[222:223]
	s_delay_alu instid0(VALU_DEP_2) | instskip(NEXT) | instid1(VALU_DEP_2)
	v_fma_f64 v[4:5], v[43:44], v[220:221], -v[4:5]
	v_fma_f64 v[6:7], v[45:46], v[220:221], v[6:7]
	ds_load_b128 v[43:46], v75 offset:23328
	ds_load_b128 v[69:72], v75 offset:27216
	s_waitcnt vmcnt(1) lgkmcnt(1)
	v_mul_f64 v[8:9], v[45:46], v[234:235]
	v_mul_f64 v[10:11], v[43:44], v[234:235]
	s_delay_alu instid0(VALU_DEP_2) | instskip(NEXT) | instid1(VALU_DEP_2)
	v_fma_f64 v[8:9], v[43:44], v[232:233], -v[8:9]
	v_fma_f64 v[10:11], v[45:46], v[232:233], v[10:11]
	ds_load_b128 v[43:46], v75 offset:42768
	ds_load_b128 v[78:81], v75 offset:46656
	s_clause 0x3
	global_load_b128 v[240:243], v[16:17], off offset:160
	global_load_b128 v[236:239], v[16:17], off offset:176
	;; [unrolled: 1-line block ×4, first 2 shown]
	s_waitcnt vmcnt(4) lgkmcnt(1)
	v_mul_f64 v[12:13], v[45:46], v[230:231]
	v_mul_f64 v[14:15], v[43:44], v[230:231]
	s_delay_alu instid0(VALU_DEP_2) | instskip(NEXT) | instid1(VALU_DEP_2)
	v_fma_f64 v[12:13], v[43:44], v[228:229], -v[12:13]
	v_fma_f64 v[14:15], v[45:46], v[228:229], v[14:15]
	ds_load_b128 v[43:46], v75 offset:31104
	s_waitcnt vmcnt(3)
	v_mul_f64 v[16:17], v[71:72], v[242:243]
	v_mul_f64 v[18:19], v[69:70], v[242:243]
	s_waitcnt vmcnt(1) lgkmcnt(0)
	v_mul_f64 v[24:25], v[45:46], v[250:251]
	v_mul_f64 v[26:27], v[43:44], v[250:251]
	;; [unrolled: 1-line block ×4, first 2 shown]
	v_fma_f64 v[16:17], v[69:70], v[240:241], -v[16:17]
	v_fma_f64 v[18:19], v[71:72], v[240:241], v[18:19]
	v_fma_f64 v[24:25], v[43:44], v[248:249], -v[24:25]
	v_fma_f64 v[26:27], v[45:46], v[248:249], v[26:27]
	ds_load_b128 v[43:46], v75 offset:50544
	ds_load_b128 v[69:72], v75 offset:54432
	s_clause 0x1
	global_load_b128 v[184:187], v[32:33], off offset:160
	global_load_b128 v[252:255], v[32:33], off offset:176
	v_fma_f64 v[22:23], v[80:81], v[236:237], v[22:23]
	v_fma_f64 v[20:21], v[78:79], v[236:237], -v[20:21]
	s_waitcnt vmcnt(2) lgkmcnt(1)
	v_mul_f64 v[28:29], v[45:46], v[246:247]
	v_mul_f64 v[30:31], v[43:44], v[246:247]
	s_delay_alu instid0(VALU_DEP_2) | instskip(NEXT) | instid1(VALU_DEP_2)
	v_fma_f64 v[28:29], v[43:44], v[244:245], -v[28:29]
	v_fma_f64 v[30:31], v[45:46], v[244:245], v[30:31]
	v_add_f64 v[44:45], v[2:3], v[6:7]
	v_add_f64 v[42:43], v[0:1], v[4:5]
	s_waitcnt vmcnt(1)
	v_mul_f64 v[32:33], v[67:68], v[186:187]
	v_mul_f64 v[34:35], v[65:66], v[186:187]
	s_waitcnt vmcnt(0) lgkmcnt(0)
	v_mul_f64 v[36:37], v[71:72], v[254:255]
	v_mul_f64 v[38:39], v[69:70], v[254:255]
	s_delay_alu instid0(VALU_DEP_4) | instskip(NEXT) | instid1(VALU_DEP_4)
	v_fma_f64 v[32:33], v[65:66], v[184:185], -v[32:33]
	v_fma_f64 v[34:35], v[67:68], v[184:185], v[34:35]
	s_delay_alu instid0(VALU_DEP_4) | instskip(NEXT) | instid1(VALU_DEP_4)
	v_fma_f64 v[36:37], v[69:70], v[252:253], -v[36:37]
	v_fma_f64 v[38:39], v[71:72], v[252:253], v[38:39]
	ds_load_b128 v[65:68], v75
	ds_load_b128 v[69:72], v75 offset:3888
	ds_load_b128 v[105:108], v75 offset:7776
	;; [unrolled: 1-line block ×3, first 2 shown]
	s_waitcnt lgkmcnt(3)
	v_fma_f64 v[44:45], v[44:45], -0.5, v[67:68]
	v_add_f64 v[48:49], v[65:66], v[0:1]
	v_add_f64 v[0:1], v[0:1], -v[4:5]
	v_fma_f64 v[42:43], v[42:43], -0.5, v[65:66]
	v_add_f64 v[46:47], v[67:68], v[2:3]
	v_add_f64 v[2:3], v[2:3], -v[6:7]
	v_add_f64 v[65:66], v[48:49], v[4:5]
	v_fma_f64 v[80:81], v[0:1], s[8:9], v[44:45]
	v_fma_f64 v[87:88], v[0:1], s[2:3], v[44:45]
	v_add_f64 v[0:1], v[8:9], v[12:13]
	v_fma_f64 v[78:79], v[2:3], s[2:3], v[42:43]
	v_fma_f64 v[85:86], v[2:3], s[8:9], v[42:43]
	v_add_f64 v[2:3], v[10:11], v[14:15]
	s_waitcnt lgkmcnt(2)
	v_add_f64 v[4:5], v[71:72], v[10:11]
	v_add_f64 v[10:11], v[10:11], -v[14:15]
	v_add_f64 v[67:68], v[46:47], v[6:7]
	v_add_f64 v[6:7], v[69:70], v[8:9]
	v_fma_f64 v[0:1], v[0:1], -0.5, v[69:70]
	v_fma_f64 v[2:3], v[2:3], -0.5, v[71:72]
	v_add_f64 v[71:72], v[4:5], v[14:15]
	v_add_f64 v[4:5], v[8:9], -v[12:13]
	v_add_f64 v[8:9], v[18:19], -v[22:23]
	v_add_f64 v[69:70], v[6:7], v[12:13]
	s_waitcnt lgkmcnt(1)
	v_add_f64 v[6:7], v[105:106], v[16:17]
	v_fma_f64 v[93:94], v[10:11], s[2:3], v[0:1]
	v_fma_f64 v[101:102], v[10:11], s[8:9], v[0:1]
	v_add_f64 v[0:1], v[16:17], v[20:21]
	v_fma_f64 v[95:96], v[4:5], s[8:9], v[2:3]
	v_fma_f64 v[103:104], v[4:5], s[2:3], v[2:3]
	v_add_f64 v[2:3], v[18:19], v[22:23]
	v_add_f64 v[4:5], v[107:108], v[18:19]
	v_fma_f64 v[0:1], v[0:1], -0.5, v[105:106]
	v_add_f64 v[105:106], v[6:7], v[20:21]
	s_waitcnt lgkmcnt(0)
	v_add_f64 v[6:7], v[109:110], v[24:25]
	v_fma_f64 v[2:3], v[2:3], -0.5, v[107:108]
	v_add_f64 v[107:108], v[4:5], v[22:23]
	v_add_f64 v[4:5], v[16:17], -v[20:21]
	v_mul_u32_u24_e32 v16, 0x2d83, v64
	v_fma_f64 v[113:114], v[8:9], s[2:3], v[0:1]
	v_fma_f64 v[117:118], v[8:9], s[8:9], v[0:1]
	v_add_f64 v[0:1], v[24:25], v[28:29]
	v_add_f64 v[8:9], v[26:27], -v[30:31]
	v_fma_f64 v[115:116], v[4:5], s[8:9], v[2:3]
	v_fma_f64 v[119:120], v[4:5], s[2:3], v[2:3]
	v_add_f64 v[2:3], v[26:27], v[30:31]
	v_add_f64 v[4:5], v[111:112], v[26:27]
	v_fma_f64 v[0:1], v[0:1], -0.5, v[109:110]
	v_add_f64 v[109:110], v[6:7], v[28:29]
	v_add_f64 v[6:7], v[51:52], v[32:33]
	v_fma_f64 v[2:3], v[2:3], -0.5, v[111:112]
	v_add_f64 v[111:112], v[4:5], v[30:31]
	v_add_f64 v[4:5], v[24:25], -v[28:29]
	v_mul_u32_u24_e32 v24, 0x2d83, v62
	v_fma_f64 v[121:122], v[8:9], s[2:3], v[0:1]
	v_fma_f64 v[125:126], v[8:9], s[8:9], v[0:1]
	v_add_f64 v[0:1], v[32:33], v[36:37]
	v_add_f64 v[8:9], v[34:35], -v[38:39]
	v_add_f64 v[129:130], v[6:7], v[36:37]
	v_fma_f64 v[123:124], v[4:5], s[8:9], v[2:3]
	v_fma_f64 v[127:128], v[4:5], s[2:3], v[2:3]
	v_add_f64 v[2:3], v[34:35], v[38:39]
	v_add_f64 v[4:5], v[53:54], v[34:35]
	v_fma_f64 v[0:1], v[0:1], -0.5, v[51:52]
	s_delay_alu instid0(VALU_DEP_3) | instskip(NEXT) | instid1(VALU_DEP_3)
	v_fma_f64 v[2:3], v[2:3], -0.5, v[53:54]
	v_add_f64 v[131:132], v[4:5], v[38:39]
	v_add_f64 v[4:5], v[32:33], -v[36:37]
	v_lshrrev_b32_e32 v53, 19, v16
	v_mul_u32_u24_e32 v32, 0x2d83, v61
	s_delay_alu instid0(VALU_DEP_2) | instskip(NEXT) | instid1(VALU_DEP_1)
	v_mul_lo_u16 v16, v53, 45
	v_sub_nc_u16 v54, v84, v16
	s_delay_alu instid0(VALU_DEP_1) | instskip(NEXT) | instid1(VALU_DEP_1)
	v_lshlrev_b16 v16, 5, v54
	v_and_b32_e32 v16, 0xffff, v16
	v_fma_f64 v[133:134], v[8:9], s[2:3], v[0:1]
	v_fma_f64 v[137:138], v[8:9], s[8:9], v[0:1]
	v_and_b32_e32 v0, 0xffff, v40
	s_delay_alu instid0(VALU_DEP_1) | instskip(SKIP_1) | instid1(VALU_DEP_2)
	v_mul_u32_u24_e32 v0, 45, v0
	v_fma_f64 v[135:136], v[4:5], s[8:9], v[2:3]
	v_add_lshl_u32 v0, v0, v50, 4
	v_fma_f64 v[139:140], v[4:5], s[2:3], v[2:3]
	scratch_store_b32 off, v0, off offset:812 ; 4-byte Folded Spill
	s_waitcnt_vscnt null, 0x0
	s_barrier
	buffer_gl0_inv
	ds_store_b128 v0, v[65:68]
	ds_store_b128 v0, v[78:81] offset:240
	ds_store_b128 v0, v[85:88] offset:480
	v_mad_u16 v0, v55, 45, v56
	v_lshrrev_b32_e32 v55, 19, v24
	s_delay_alu instid0(VALU_DEP_2) | instskip(NEXT) | instid1(VALU_DEP_2)
	v_and_b32_e32 v0, 0xffff, v0
	v_mul_lo_u16 v24, v55, 45
	s_delay_alu instid0(VALU_DEP_2) | instskip(NEXT) | instid1(VALU_DEP_2)
	v_lshlrev_b32_e32 v0, 4, v0
	v_sub_nc_u16 v56, v159, v24
	scratch_store_b32 off, v0, off offset:808 ; 4-byte Folded Spill
	ds_store_b128 v0, v[69:72]
	ds_store_b128 v0, v[93:96] offset:240
	ds_store_b128 v0, v[101:104] offset:480
	v_mad_u16 v0, v57, 45, v58
	v_lshlrev_b16 v24, 5, v56
	v_lshrrev_b32_e32 v57, 19, v32
	s_delay_alu instid0(VALU_DEP_3) | instskip(NEXT) | instid1(VALU_DEP_3)
	v_and_b32_e32 v0, 0xffff, v0
	v_and_b32_e32 v24, 0xffff, v24
	s_delay_alu instid0(VALU_DEP_3) | instskip(NEXT) | instid1(VALU_DEP_3)
	v_mul_lo_u16 v32, v57, 45
	v_lshlrev_b32_e32 v0, 4, v0
	s_delay_alu instid0(VALU_DEP_2)
	v_sub_nc_u16 v58, v59, v32
	scratch_store_b32 off, v0, off offset:804 ; 4-byte Folded Spill
	ds_store_b128 v0, v[105:108]
	ds_store_b128 v0, v[113:116] offset:240
	ds_store_b128 v0, v[117:120] offset:480
	v_mad_u16 v0, v74, 45, v82
	v_lshlrev_b16 v32, 5, v58
	s_delay_alu instid0(VALU_DEP_2) | instskip(NEXT) | instid1(VALU_DEP_2)
	v_and_b32_e32 v0, 0xffff, v0
	v_and_b32_e32 v32, 0xffff, v32
	s_delay_alu instid0(VALU_DEP_2)
	v_lshlrev_b32_e32 v0, 4, v0
	scratch_store_b32 off, v0, off offset:800 ; 4-byte Folded Spill
	ds_store_b128 v0, v[109:112]
	ds_store_b128 v0, v[121:124] offset:240
	ds_store_b128 v0, v[125:128] offset:480
	v_mad_u16 v0, v83, 45, v89
	s_delay_alu instid0(VALU_DEP_1) | instskip(NEXT) | instid1(VALU_DEP_1)
	v_and_b32_e32 v0, 0xffff, v0
	v_lshlrev_b32_e32 v0, 4, v0
	scratch_store_b32 off, v0, off offset:796 ; 4-byte Folded Spill
	ds_store_b128 v0, v[129:132]
	ds_store_b128 v0, v[133:136] offset:240
	ds_store_b128 v0, v[137:140] offset:480
	v_mul_lo_u16 v0, 0x6d, v73
	s_waitcnt lgkmcnt(0)
	s_waitcnt_vscnt null, 0x0
	s_barrier
	buffer_gl0_inv
	v_lshrrev_b16 v0, 8, v0
	s_delay_alu instid0(VALU_DEP_1) | instskip(NEXT) | instid1(VALU_DEP_1)
	v_sub_nc_u16 v1, v158, v0
	v_lshrrev_b16 v1, 1, v1
	s_delay_alu instid0(VALU_DEP_1) | instskip(NEXT) | instid1(VALU_DEP_1)
	v_and_b32_e32 v1, 0x7f, v1
	v_add_nc_u16 v0, v1, v0
	s_delay_alu instid0(VALU_DEP_1) | instskip(NEXT) | instid1(VALU_DEP_1)
	v_lshrrev_b16 v40, 5, v0
	v_mul_lo_u16 v0, v40, 45
	s_delay_alu instid0(VALU_DEP_1) | instskip(NEXT) | instid1(VALU_DEP_1)
	v_sub_nc_u16 v0, v158, v0
	v_and_b32_e32 v50, 0xff, v0
	s_delay_alu instid0(VALU_DEP_1)
	v_lshlrev_b32_e32 v0, 5, v50
	s_clause 0x1
	global_load_b128 v[8:11], v0, s[10:11] offset:640
	global_load_b128 v[4:7], v0, s[10:11] offset:656
	s_waitcnt vmcnt(1)
	scratch_store_b128 off, v[8:11], off offset:780 ; 16-byte Folded Spill
	ds_load_b128 v[65:68], v75 offset:19440
	ds_load_b128 v[69:72], v75 offset:15552
	s_waitcnt lgkmcnt(1)
	v_mul_f64 v[0:1], v[67:68], v[10:11]
	v_mul_f64 v[2:3], v[65:66], v[10:11]
	s_delay_alu instid0(VALU_DEP_2) | instskip(NEXT) | instid1(VALU_DEP_2)
	v_fma_f64 v[0:1], v[65:66], v[8:9], -v[0:1]
	v_fma_f64 v[2:3], v[67:68], v[8:9], v[2:3]
	ds_load_b128 v[65:68], v75 offset:38880
	ds_load_b128 v[78:81], v75 offset:34992
	s_waitcnt vmcnt(0)
	v_dual_mov_b32 v11, v7 :: v_dual_mov_b32 v10, v6
	v_dual_mov_b32 v9, v5 :: v_dual_mov_b32 v8, v4
	scratch_store_b128 off, v[8:11], off offset:764 ; 16-byte Folded Spill
	s_waitcnt lgkmcnt(1)
	v_mul_f64 v[4:5], v[67:68], v[10:11]
	v_mul_f64 v[6:7], v[65:66], v[10:11]
	s_delay_alu instid0(VALU_DEP_2) | instskip(NEXT) | instid1(VALU_DEP_2)
	v_fma_f64 v[4:5], v[65:66], v[8:9], -v[4:5]
	v_fma_f64 v[6:7], v[67:68], v[8:9], v[6:7]
	v_mul_u32_u24_e32 v8, 0x2d83, v63
	s_delay_alu instid0(VALU_DEP_1) | instskip(NEXT) | instid1(VALU_DEP_1)
	v_lshrrev_b32_e32 v51, 19, v8
	v_mul_lo_u16 v8, v51, 45
	s_delay_alu instid0(VALU_DEP_1) | instskip(NEXT) | instid1(VALU_DEP_1)
	v_sub_nc_u16 v52, v41, v8
	v_lshlrev_b16 v8, 5, v52
	s_delay_alu instid0(VALU_DEP_1) | instskip(NEXT) | instid1(VALU_DEP_1)
	v_and_b32_e32 v8, 0xffff, v8
	v_add_co_u32 v8, s22, s10, v8
	s_delay_alu instid0(VALU_DEP_1)
	v_add_co_ci_u32_e64 v9, null, s11, 0, s22
	s_clause 0x1
	global_load_b128 v[192:195], v[8:9], off offset:640
	global_load_b128 v[188:191], v[8:9], off offset:656
	ds_load_b128 v[65:68], v75 offset:23328
	ds_load_b128 v[85:88], v75 offset:27216
	v_add_co_u32 v16, s22, s10, v16
	s_delay_alu instid0(VALU_DEP_1) | instskip(SKIP_1) | instid1(VALU_DEP_1)
	v_add_co_ci_u32_e64 v17, null, s11, 0, s22
	v_add_co_u32 v24, s22, s10, v24
	v_add_co_ci_u32_e64 v25, null, s11, 0, s22
	v_add_co_u32 v32, s22, s10, v32
	s_delay_alu instid0(VALU_DEP_1)
	v_add_co_ci_u32_e64 v33, null, s11, 0, s22
	v_add_f64 v[44:45], v[2:3], v[6:7]
	v_add_f64 v[42:43], v[0:1], v[4:5]
	s_waitcnt vmcnt(1) lgkmcnt(1)
	v_mul_f64 v[8:9], v[67:68], v[194:195]
	v_mul_f64 v[10:11], v[65:66], v[194:195]
	s_delay_alu instid0(VALU_DEP_2) | instskip(NEXT) | instid1(VALU_DEP_2)
	v_fma_f64 v[8:9], v[65:66], v[192:193], -v[8:9]
	v_fma_f64 v[10:11], v[67:68], v[192:193], v[10:11]
	ds_load_b128 v[65:68], v75 offset:42768
	ds_load_b128 v[93:96], v75 offset:46656
	s_clause 0x3
	global_load_b128 v[200:203], v[16:17], off offset:640
	global_load_b128 v[196:199], v[16:17], off offset:656
	;; [unrolled: 1-line block ×4, first 2 shown]
	s_waitcnt vmcnt(4) lgkmcnt(1)
	v_mul_f64 v[12:13], v[67:68], v[190:191]
	v_mul_f64 v[14:15], v[65:66], v[190:191]
	s_delay_alu instid0(VALU_DEP_2) | instskip(NEXT) | instid1(VALU_DEP_2)
	v_fma_f64 v[12:13], v[65:66], v[188:189], -v[12:13]
	v_fma_f64 v[14:15], v[67:68], v[188:189], v[14:15]
	ds_load_b128 v[65:68], v75 offset:31104
	s_waitcnt vmcnt(3)
	v_mul_f64 v[16:17], v[87:88], v[202:203]
	v_mul_f64 v[18:19], v[85:86], v[202:203]
	s_waitcnt vmcnt(1) lgkmcnt(0)
	v_mul_f64 v[24:25], v[67:68], v[210:211]
	v_mul_f64 v[26:27], v[65:66], v[210:211]
	;; [unrolled: 1-line block ×4, first 2 shown]
	v_fma_f64 v[16:17], v[85:86], v[200:201], -v[16:17]
	v_fma_f64 v[18:19], v[87:88], v[200:201], v[18:19]
	v_fma_f64 v[24:25], v[65:66], v[208:209], -v[24:25]
	v_fma_f64 v[26:27], v[67:68], v[208:209], v[26:27]
	ds_load_b128 v[65:68], v75 offset:50544
	ds_load_b128 v[85:88], v75 offset:54432
	s_clause 0x1
	global_load_b128 v[216:219], v[32:33], off offset:640
	global_load_b128 v[212:215], v[32:33], off offset:656
	v_fma_f64 v[22:23], v[95:96], v[196:197], v[22:23]
	v_fma_f64 v[20:21], v[93:94], v[196:197], -v[20:21]
	s_waitcnt vmcnt(2) lgkmcnt(1)
	v_mul_f64 v[28:29], v[67:68], v[206:207]
	v_mul_f64 v[30:31], v[65:66], v[206:207]
	s_delay_alu instid0(VALU_DEP_2) | instskip(NEXT) | instid1(VALU_DEP_2)
	v_fma_f64 v[28:29], v[65:66], v[204:205], -v[28:29]
	v_fma_f64 v[30:31], v[67:68], v[204:205], v[30:31]
	s_waitcnt vmcnt(1)
	v_mul_f64 v[32:33], v[80:81], v[218:219]
	v_mul_f64 v[34:35], v[78:79], v[218:219]
	s_waitcnt vmcnt(0) lgkmcnt(0)
	v_mul_f64 v[38:39], v[85:86], v[214:215]
	v_mul_f64 v[36:37], v[87:88], v[214:215]
	s_delay_alu instid0(VALU_DEP_4) | instskip(NEXT) | instid1(VALU_DEP_4)
	v_fma_f64 v[32:33], v[78:79], v[216:217], -v[32:33]
	v_fma_f64 v[34:35], v[80:81], v[216:217], v[34:35]
	ds_load_b128 v[65:68], v75
	ds_load_b128 v[78:81], v75 offset:3888
	v_fma_f64 v[38:39], v[87:88], v[212:213], v[38:39]
	v_fma_f64 v[36:37], v[85:86], v[212:213], -v[36:37]
	ds_load_b128 v[109:112], v75 offset:7776
	ds_load_b128 v[113:116], v75 offset:11664
	s_waitcnt lgkmcnt(3)
	v_fma_f64 v[44:45], v[44:45], -0.5, v[67:68]
	v_add_f64 v[48:49], v[65:66], v[0:1]
	v_add_f64 v[0:1], v[0:1], -v[4:5]
	v_fma_f64 v[42:43], v[42:43], -0.5, v[65:66]
	v_add_f64 v[46:47], v[67:68], v[2:3]
	v_add_f64 v[2:3], v[2:3], -v[6:7]
	v_add_f64 v[65:66], v[48:49], v[4:5]
	v_fma_f64 v[87:88], v[0:1], s[8:9], v[44:45]
	v_fma_f64 v[95:96], v[0:1], s[2:3], v[44:45]
	v_add_f64 v[0:1], v[8:9], v[12:13]
	v_fma_f64 v[85:86], v[2:3], s[2:3], v[42:43]
	v_fma_f64 v[93:94], v[2:3], s[8:9], v[42:43]
	v_add_f64 v[2:3], v[10:11], v[14:15]
	s_waitcnt lgkmcnt(2)
	v_add_f64 v[4:5], v[80:81], v[10:11]
	v_add_f64 v[10:11], v[10:11], -v[14:15]
	v_add_f64 v[67:68], v[46:47], v[6:7]
	v_add_f64 v[6:7], v[78:79], v[8:9]
	v_fma_f64 v[0:1], v[0:1], -0.5, v[78:79]
	v_fma_f64 v[2:3], v[2:3], -0.5, v[80:81]
	v_add_f64 v[80:81], v[4:5], v[14:15]
	v_add_f64 v[4:5], v[8:9], -v[12:13]
	v_add_f64 v[8:9], v[18:19], -v[22:23]
	v_add_f64 v[78:79], v[6:7], v[12:13]
	s_waitcnt lgkmcnt(1)
	v_add_f64 v[6:7], v[109:110], v[16:17]
	v_fma_f64 v[101:102], v[10:11], s[2:3], v[0:1]
	v_fma_f64 v[105:106], v[10:11], s[8:9], v[0:1]
	v_add_f64 v[0:1], v[16:17], v[20:21]
	v_fma_f64 v[103:104], v[4:5], s[8:9], v[2:3]
	v_fma_f64 v[107:108], v[4:5], s[2:3], v[2:3]
	v_add_f64 v[2:3], v[18:19], v[22:23]
	v_add_f64 v[4:5], v[111:112], v[18:19]
	v_fma_f64 v[0:1], v[0:1], -0.5, v[109:110]
	v_add_f64 v[109:110], v[6:7], v[20:21]
	s_waitcnt lgkmcnt(0)
	v_add_f64 v[6:7], v[113:114], v[24:25]
	v_fma_f64 v[2:3], v[2:3], -0.5, v[111:112]
	v_add_f64 v[111:112], v[4:5], v[22:23]
	v_add_f64 v[4:5], v[16:17], -v[20:21]
	v_fma_f64 v[117:118], v[8:9], s[2:3], v[0:1]
	v_fma_f64 v[121:122], v[8:9], s[8:9], v[0:1]
	v_add_f64 v[0:1], v[24:25], v[28:29]
	v_add_f64 v[8:9], v[26:27], -v[30:31]
	v_fma_f64 v[119:120], v[4:5], s[8:9], v[2:3]
	v_fma_f64 v[123:124], v[4:5], s[2:3], v[2:3]
	v_add_f64 v[2:3], v[26:27], v[30:31]
	v_add_f64 v[4:5], v[115:116], v[26:27]
	v_fma_f64 v[0:1], v[0:1], -0.5, v[113:114]
	v_add_f64 v[113:114], v[6:7], v[28:29]
	v_add_f64 v[6:7], v[69:70], v[32:33]
	v_fma_f64 v[2:3], v[2:3], -0.5, v[115:116]
	v_add_f64 v[115:116], v[4:5], v[30:31]
	v_add_f64 v[4:5], v[24:25], -v[28:29]
	v_fma_f64 v[125:126], v[8:9], s[2:3], v[0:1]
	v_fma_f64 v[129:130], v[8:9], s[8:9], v[0:1]
	v_add_f64 v[0:1], v[32:33], v[36:37]
	v_add_f64 v[8:9], v[34:35], -v[38:39]
	v_fma_f64 v[127:128], v[4:5], s[8:9], v[2:3]
	v_fma_f64 v[131:132], v[4:5], s[2:3], v[2:3]
	v_add_f64 v[2:3], v[34:35], v[38:39]
	v_add_f64 v[4:5], v[71:72], v[34:35]
	v_fma_f64 v[0:1], v[0:1], -0.5, v[69:70]
	v_add_f64 v[69:70], v[6:7], v[36:37]
	s_delay_alu instid0(VALU_DEP_4) | instskip(NEXT) | instid1(VALU_DEP_4)
	v_fma_f64 v[2:3], v[2:3], -0.5, v[71:72]
	v_add_f64 v[71:72], v[4:5], v[38:39]
	v_add_f64 v[4:5], v[32:33], -v[36:37]
	v_fma_f64 v[133:134], v[8:9], s[2:3], v[0:1]
	v_fma_f64 v[137:138], v[8:9], s[8:9], v[0:1]
	v_and_b32_e32 v0, 0xffff, v40
	s_delay_alu instid0(VALU_DEP_1) | instskip(SKIP_1) | instid1(VALU_DEP_2)
	v_mul_u32_u24_e32 v0, 0x87, v0
	v_fma_f64 v[135:136], v[4:5], s[8:9], v[2:3]
	v_add_lshl_u32 v0, v0, v50, 4
	v_fma_f64 v[139:140], v[4:5], s[2:3], v[2:3]
	v_mov_b32_e32 v2, v99
	scratch_store_b32 off, v0, off offset:760 ; 4-byte Folded Spill
	s_waitcnt_vscnt null, 0x0
	s_barrier
	buffer_gl0_inv
	ds_store_b128 v0, v[65:68]
	ds_store_b128 v0, v[85:88] offset:720
	ds_store_b128 v0, v[93:96] offset:1440
	v_mad_u16 v0, 0x87, v51, v52
	s_delay_alu instid0(VALU_DEP_1) | instskip(NEXT) | instid1(VALU_DEP_1)
	v_and_b32_e32 v0, 0xffff, v0
	v_lshlrev_b32_e32 v0, 4, v0
	scratch_store_b32 off, v0, off offset:756 ; 4-byte Folded Spill
	ds_store_b128 v0, v[78:81]
	ds_store_b128 v0, v[101:104] offset:720
	ds_store_b128 v0, v[105:108] offset:1440
	v_mad_u16 v0, 0x87, v53, v54
	s_delay_alu instid0(VALU_DEP_1) | instskip(NEXT) | instid1(VALU_DEP_1)
	v_and_b32_e32 v0, 0xffff, v0
	v_lshlrev_b32_e32 v0, 4, v0
	scratch_store_b32 off, v0, off offset:752 ; 4-byte Folded Spill
	;; [unrolled: 8-line block ×3, first 2 shown]
	ds_store_b128 v0, v[113:116]
	ds_store_b128 v0, v[125:128] offset:720
	ds_store_b128 v0, v[129:132] offset:1440
	v_mad_u16 v0, 0x87, v57, v58
	v_mov_b32_e32 v58, v99
	s_delay_alu instid0(VALU_DEP_2) | instskip(NEXT) | instid1(VALU_DEP_1)
	v_and_b32_e32 v0, 0xffff, v0
	v_lshlrev_b32_e32 v0, 4, v0
	scratch_store_b32 off, v0, off offset:744 ; 4-byte Folded Spill
	ds_store_b128 v0, v[69:72]
	ds_store_b128 v0, v[133:136] offset:720
	ds_store_b128 v0, v[137:140] offset:1440
	v_add_co_u32 v0, s22, 0xffffff79, v2
	s_delay_alu instid0(VALU_DEP_1) | instskip(SKIP_2) | instid1(VALU_DEP_2)
	v_add_co_ci_u32_e64 v1, null, 0, -1, s22
	s_waitcnt lgkmcnt(0)
	s_waitcnt_vscnt null, 0x0
	v_cndmask_b32_e32 v0, v0, v2, vcc_lo
	s_barrier
	v_cndmask_b32_e64 v1, v1, 0, vcc_lo
	buffer_gl0_inv
	v_lshlrev_b64 v[1:2], 5, v[0:1]
	s_delay_alu instid0(VALU_DEP_1) | instskip(NEXT) | instid1(VALU_DEP_2)
	v_add_co_u32 v1, vcc_lo, s10, v1
	v_add_co_ci_u32_e32 v2, vcc_lo, s11, v2, vcc_lo
	v_cmp_lt_u16_e64 vcc_lo, 0x86, v158
	s_clause 0x1
	global_load_b128 v[9:12], v[1:2], off offset:2080
	global_load_b128 v[5:8], v[1:2], off offset:2096
	s_waitcnt vmcnt(1)
	scratch_store_b128 off, v[9:12], off offset:600 ; 16-byte Folded Spill
	ds_load_b128 v[65:68], v75 offset:19440
	ds_load_b128 v[69:72], v75 offset:15552
	s_waitcnt lgkmcnt(1)
	v_mul_f64 v[1:2], v[67:68], v[11:12]
	v_mul_f64 v[3:4], v[65:66], v[11:12]
	s_delay_alu instid0(VALU_DEP_2) | instskip(NEXT) | instid1(VALU_DEP_2)
	v_fma_f64 v[1:2], v[65:66], v[9:10], -v[1:2]
	v_fma_f64 v[3:4], v[67:68], v[9:10], v[3:4]
	ds_load_b128 v[65:68], v75 offset:38880
	ds_load_b128 v[78:81], v75 offset:34992
	s_waitcnt vmcnt(0)
	v_dual_mov_b32 v12, v8 :: v_dual_mov_b32 v11, v7
	v_dual_mov_b32 v10, v6 :: v_dual_mov_b32 v9, v5
	scratch_store_b128 off, v[9:12], off offset:584 ; 16-byte Folded Spill
	s_waitcnt lgkmcnt(1)
	v_mul_f64 v[5:6], v[67:68], v[11:12]
	v_mul_f64 v[7:8], v[65:66], v[11:12]
	s_delay_alu instid0(VALU_DEP_2) | instskip(NEXT) | instid1(VALU_DEP_2)
	v_fma_f64 v[5:6], v[65:66], v[9:10], -v[5:6]
	v_fma_f64 v[7:8], v[67:68], v[9:10], v[7:8]
	v_mul_u32_u24_e32 v9, 0x795d, v63
	s_delay_alu instid0(VALU_DEP_1) | instskip(NEXT) | instid1(VALU_DEP_1)
	v_lshrrev_b32_e32 v50, 22, v9
	v_mul_lo_u16 v9, 0x87, v50
	s_delay_alu instid0(VALU_DEP_1) | instskip(NEXT) | instid1(VALU_DEP_1)
	v_sub_nc_u16 v51, v41, v9
	v_lshlrev_b16 v9, 5, v51
	s_delay_alu instid0(VALU_DEP_1) | instskip(NEXT) | instid1(VALU_DEP_1)
	v_and_b32_e32 v9, 0xffff, v9
	v_add_co_u32 v9, s22, s10, v9
	s_delay_alu instid0(VALU_DEP_1)
	v_add_co_ci_u32_e64 v10, null, s11, 0, s22
	s_clause 0x1
	global_load_b128 v[17:20], v[9:10], off offset:2080
	global_load_b128 v[13:16], v[9:10], off offset:2096
	s_waitcnt vmcnt(1)
	scratch_store_b128 off, v[17:20], off offset:636 ; 16-byte Folded Spill
	ds_load_b128 v[65:68], v75 offset:23328
	ds_load_b128 v[85:88], v75 offset:27216
	s_waitcnt lgkmcnt(1)
	v_mul_f64 v[9:10], v[67:68], v[19:20]
	v_mul_f64 v[11:12], v[65:66], v[19:20]
	s_delay_alu instid0(VALU_DEP_2) | instskip(NEXT) | instid1(VALU_DEP_2)
	v_fma_f64 v[9:10], v[65:66], v[17:18], -v[9:10]
	v_fma_f64 v[11:12], v[67:68], v[17:18], v[11:12]
	ds_load_b128 v[65:68], v75 offset:42768
	ds_load_b128 v[93:96], v75 offset:46656
	s_waitcnt vmcnt(0)
	v_dual_mov_b32 v20, v16 :: v_dual_mov_b32 v19, v15
	v_dual_mov_b32 v18, v14 :: v_dual_mov_b32 v17, v13
	scratch_store_b128 off, v[17:20], off offset:620 ; 16-byte Folded Spill
	s_waitcnt lgkmcnt(1)
	v_mul_f64 v[13:14], v[67:68], v[19:20]
	v_mul_f64 v[15:16], v[65:66], v[19:20]
	s_delay_alu instid0(VALU_DEP_2) | instskip(NEXT) | instid1(VALU_DEP_2)
	v_fma_f64 v[13:14], v[65:66], v[17:18], -v[13:14]
	v_fma_f64 v[15:16], v[67:68], v[17:18], v[15:16]
	v_mul_u32_u24_e32 v17, 0x795d, v64
	ds_load_b128 v[63:66], v75 offset:31104
	v_lshrrev_b32_e32 v52, 22, v17
	s_delay_alu instid0(VALU_DEP_1) | instskip(NEXT) | instid1(VALU_DEP_1)
	v_mul_lo_u16 v17, 0x87, v52
	v_sub_nc_u16 v53, v84, v17
	s_delay_alu instid0(VALU_DEP_1) | instskip(NEXT) | instid1(VALU_DEP_1)
	v_lshlrev_b16 v17, 5, v53
	v_and_b32_e32 v17, 0xffff, v17
	s_delay_alu instid0(VALU_DEP_1) | instskip(NEXT) | instid1(VALU_DEP_1)
	v_add_co_u32 v17, s22, s10, v17
	v_add_co_ci_u32_e64 v18, null, s11, 0, s22
	s_clause 0x1
	global_load_b128 v[25:28], v[17:18], off offset:2080
	global_load_b128 v[21:24], v[17:18], off offset:2096
	s_waitcnt vmcnt(1)
	v_mul_f64 v[17:18], v[87:88], v[27:28]
	v_mul_f64 v[19:20], v[85:86], v[27:28]
	scratch_store_b128 off, v[25:28], off offset:652 ; 16-byte Folded Spill
	v_fma_f64 v[17:18], v[85:86], v[25:26], -v[17:18]
	v_fma_f64 v[19:20], v[87:88], v[25:26], v[19:20]
	s_waitcnt vmcnt(0)
	v_dual_mov_b32 v28, v24 :: v_dual_mov_b32 v27, v23
	v_dual_mov_b32 v26, v22 :: v_dual_mov_b32 v25, v21
	s_waitcnt lgkmcnt(1)
	s_delay_alu instid0(VALU_DEP_2)
	v_mul_f64 v[21:22], v[95:96], v[27:28]
	v_mul_f64 v[23:24], v[93:94], v[27:28]
	scratch_store_b128 off, v[25:28], off offset:668 ; 16-byte Folded Spill
	v_fma_f64 v[21:22], v[93:94], v[25:26], -v[21:22]
	v_fma_f64 v[23:24], v[95:96], v[25:26], v[23:24]
	v_mul_u32_u24_e32 v25, 0x795d, v62
	s_delay_alu instid0(VALU_DEP_1) | instskip(NEXT) | instid1(VALU_DEP_1)
	v_lshrrev_b32_e32 v54, 22, v25
	v_mul_lo_u16 v25, 0x87, v54
	s_delay_alu instid0(VALU_DEP_1) | instskip(NEXT) | instid1(VALU_DEP_1)
	v_sub_nc_u16 v55, v159, v25
	v_lshlrev_b16 v25, 5, v55
	s_delay_alu instid0(VALU_DEP_1) | instskip(NEXT) | instid1(VALU_DEP_1)
	v_and_b32_e32 v25, 0xffff, v25
	v_add_co_u32 v25, s22, s10, v25
	s_delay_alu instid0(VALU_DEP_1)
	v_add_co_ci_u32_e64 v26, null, s11, 0, s22
	s_clause 0x1
	global_load_b128 v[33:36], v[25:26], off offset:2080
	global_load_b128 v[29:32], v[25:26], off offset:2096
	s_waitcnt vmcnt(1) lgkmcnt(0)
	v_mul_f64 v[25:26], v[65:66], v[35:36]
	v_mul_f64 v[27:28], v[63:64], v[35:36]
	scratch_store_b128 off, v[33:36], off offset:704 ; 16-byte Folded Spill
	v_fma_f64 v[25:26], v[63:64], v[33:34], -v[25:26]
	v_fma_f64 v[27:28], v[65:66], v[33:34], v[27:28]
	ds_load_b128 v[63:66], v75 offset:50544
	ds_load_b128 v[85:88], v75 offset:54432
	s_waitcnt vmcnt(0)
	v_dual_mov_b32 v36, v32 :: v_dual_mov_b32 v35, v31
	v_dual_mov_b32 v34, v30 :: v_dual_mov_b32 v33, v29
	scratch_store_b128 off, v[33:36], off offset:688 ; 16-byte Folded Spill
	s_waitcnt lgkmcnt(1)
	v_mul_f64 v[29:30], v[65:66], v[35:36]
	v_mul_f64 v[31:32], v[63:64], v[35:36]
	s_delay_alu instid0(VALU_DEP_2) | instskip(NEXT) | instid1(VALU_DEP_2)
	v_fma_f64 v[29:30], v[63:64], v[33:34], -v[29:30]
	v_fma_f64 v[31:32], v[65:66], v[33:34], v[31:32]
	v_mul_u32_u24_e32 v33, 0x795d, v61
	s_delay_alu instid0(VALU_DEP_1) | instskip(NEXT) | instid1(VALU_DEP_1)
	v_lshrrev_b32_e32 v56, 22, v33
	v_mul_lo_u16 v33, 0x87, v56
	s_delay_alu instid0(VALU_DEP_1) | instskip(NEXT) | instid1(VALU_DEP_1)
	v_sub_nc_u16 v57, v59, v33
	v_lshlrev_b16 v33, 5, v57
	s_delay_alu instid0(VALU_DEP_1) | instskip(NEXT) | instid1(VALU_DEP_1)
	v_and_b32_e32 v33, 0xffff, v33
	v_add_co_u32 v33, s22, s10, v33
	s_delay_alu instid0(VALU_DEP_1)
	v_add_co_ci_u32_e64 v34, null, s11, 0, s22
	s_clause 0x1
	global_load_b128 v[137:140], v[33:34], off offset:2080
	global_load_b128 v[42:45], v[33:34], off offset:2096
	s_waitcnt vmcnt(1)
	v_mul_f64 v[33:34], v[80:81], v[139:140]
	v_mul_f64 v[35:36], v[78:79], v[139:140]
	s_waitcnt vmcnt(0) lgkmcnt(0)
	v_mul_f64 v[37:38], v[87:88], v[44:45]
	v_mul_f64 v[39:40], v[85:86], v[44:45]
	scratch_store_b128 off, v[42:45], off offset:720 ; 16-byte Folded Spill
	v_add_f64 v[44:45], v[3:4], v[7:8]
	v_fma_f64 v[33:34], v[78:79], v[137:138], -v[33:34]
	v_fma_f64 v[35:36], v[80:81], v[137:138], v[35:36]
	ds_load_b128 v[63:66], v75
	ds_load_b128 v[78:81], v75 offset:3888
	v_fma_f64 v[37:38], v[85:86], v[42:43], -v[37:38]
	v_fma_f64 v[39:40], v[87:88], v[42:43], v[39:40]
	v_add_f64 v[42:43], v[1:2], v[5:6]
	ds_load_b128 v[109:112], v75 offset:7776
	ds_load_b128 v[113:116], v75 offset:11664
	s_waitcnt lgkmcnt(3)
	v_fma_f64 v[44:45], v[44:45], -0.5, v[65:66]
	v_add_f64 v[48:49], v[63:64], v[1:2]
	v_add_f64 v[1:2], v[1:2], -v[5:6]
	v_add_f64 v[46:47], v[65:66], v[3:4]
	v_add_f64 v[3:4], v[3:4], -v[7:8]
	v_fma_f64 v[42:43], v[42:43], -0.5, v[63:64]
	v_add_f64 v[63:64], v[48:49], v[5:6]
	v_fma_f64 v[87:88], v[1:2], s[8:9], v[44:45]
	v_fma_f64 v[95:96], v[1:2], s[2:3], v[44:45]
	v_add_f64 v[1:2], v[9:10], v[13:14]
	s_waitcnt lgkmcnt(2)
	v_add_f64 v[5:6], v[80:81], v[11:12]
	v_add_f64 v[65:66], v[46:47], v[7:8]
	;; [unrolled: 1-line block ×3, first 2 shown]
	v_fma_f64 v[85:86], v[3:4], s[2:3], v[42:43]
	v_fma_f64 v[93:94], v[3:4], s[8:9], v[42:43]
	v_add_f64 v[3:4], v[11:12], v[15:16]
	v_add_f64 v[11:12], v[11:12], -v[15:16]
	v_fma_f64 v[1:2], v[1:2], -0.5, v[78:79]
	v_add_f64 v[78:79], v[7:8], v[13:14]
	s_waitcnt lgkmcnt(1)
	v_add_f64 v[7:8], v[109:110], v[17:18]
	v_fma_f64 v[3:4], v[3:4], -0.5, v[80:81]
	v_add_f64 v[80:81], v[5:6], v[15:16]
	v_add_f64 v[5:6], v[9:10], -v[13:14]
	v_add_f64 v[9:10], v[19:20], -v[23:24]
	v_fma_f64 v[101:102], v[11:12], s[2:3], v[1:2]
	v_fma_f64 v[105:106], v[11:12], s[8:9], v[1:2]
	v_add_f64 v[1:2], v[17:18], v[21:22]
	v_fma_f64 v[103:104], v[5:6], s[8:9], v[3:4]
	v_fma_f64 v[107:108], v[5:6], s[2:3], v[3:4]
	v_add_f64 v[3:4], v[19:20], v[23:24]
	v_add_f64 v[5:6], v[111:112], v[19:20]
	v_fma_f64 v[1:2], v[1:2], -0.5, v[109:110]
	v_add_f64 v[109:110], v[7:8], v[21:22]
	s_waitcnt lgkmcnt(0)
	v_add_f64 v[7:8], v[113:114], v[25:26]
	v_fma_f64 v[3:4], v[3:4], -0.5, v[111:112]
	v_add_f64 v[111:112], v[5:6], v[23:24]
	v_add_f64 v[5:6], v[17:18], -v[21:22]
	v_fma_f64 v[117:118], v[9:10], s[2:3], v[1:2]
	v_fma_f64 v[121:122], v[9:10], s[8:9], v[1:2]
	v_add_f64 v[1:2], v[25:26], v[29:30]
	v_add_f64 v[9:10], v[27:28], -v[31:32]
	v_fma_f64 v[119:120], v[5:6], s[8:9], v[3:4]
	v_fma_f64 v[123:124], v[5:6], s[2:3], v[3:4]
	v_add_f64 v[3:4], v[27:28], v[31:32]
	v_add_f64 v[5:6], v[115:116], v[27:28]
	v_fma_f64 v[1:2], v[1:2], -0.5, v[113:114]
	v_add_f64 v[113:114], v[7:8], v[29:30]
	v_add_f64 v[7:8], v[69:70], v[33:34]
	v_fma_f64 v[3:4], v[3:4], -0.5, v[115:116]
	v_add_f64 v[115:116], v[5:6], v[31:32]
	v_add_f64 v[5:6], v[25:26], -v[29:30]
	v_fma_f64 v[125:126], v[9:10], s[2:3], v[1:2]
	v_fma_f64 v[129:130], v[9:10], s[8:9], v[1:2]
	v_add_f64 v[1:2], v[33:34], v[37:38]
	v_add_f64 v[9:10], v[35:36], -v[39:40]
	v_add_f64 v[67:68], v[7:8], v[37:38]
	v_fma_f64 v[127:128], v[5:6], s[8:9], v[3:4]
	v_fma_f64 v[131:132], v[5:6], s[2:3], v[3:4]
	v_add_f64 v[3:4], v[35:36], v[39:40]
	v_add_f64 v[5:6], v[71:72], v[35:36]
	v_fma_f64 v[1:2], v[1:2], -0.5, v[69:70]
	s_delay_alu instid0(VALU_DEP_3) | instskip(NEXT) | instid1(VALU_DEP_3)
	v_fma_f64 v[3:4], v[3:4], -0.5, v[71:72]
	v_add_f64 v[69:70], v[5:6], v[39:40]
	v_add_f64 v[5:6], v[33:34], -v[37:38]
	s_delay_alu instid0(VALU_DEP_4) | instskip(SKIP_2) | instid1(VALU_DEP_1)
	v_fma_f64 v[71:72], v[9:10], s[2:3], v[1:2]
	v_fma_f64 v[133:134], v[9:10], s[8:9], v[1:2]
	v_cndmask_b32_e64 v1, 0, 0x195, vcc_lo
	v_add_lshl_u32 v0, v0, v1, 4
	scratch_store_b32 off, v0, off offset:740 ; 4-byte Folded Spill
	s_waitcnt_vscnt null, 0x0
	s_barrier
	buffer_gl0_inv
	ds_store_b128 v0, v[63:66]
	ds_store_b128 v0, v[85:88] offset:2160
	ds_store_b128 v0, v[93:96] offset:4320
	v_mad_u16 v0, 0x195, v50, v51
	s_delay_alu instid0(VALU_DEP_1) | instskip(NEXT) | instid1(VALU_DEP_1)
	v_and_b32_e32 v0, 0xffff, v0
	v_lshlrev_b32_e32 v0, 4, v0
	v_fma_f64 v[73:74], v[5:6], s[8:9], v[3:4]
	v_fma_f64 v[135:136], v[5:6], s[2:3], v[3:4]
	scratch_store_b32 off, v0, off offset:736 ; 4-byte Folded Spill
	ds_store_b128 v0, v[78:81]
	ds_store_b128 v0, v[101:104] offset:2160
	ds_store_b128 v0, v[105:108] offset:4320
	v_mad_u16 v0, 0x195, v52, v53
	s_delay_alu instid0(VALU_DEP_1) | instskip(NEXT) | instid1(VALU_DEP_1)
	v_and_b32_e32 v0, 0xffff, v0
	v_lshlrev_b32_e32 v0, 4, v0
	scratch_store_b32 off, v0, off offset:684 ; 4-byte Folded Spill
	ds_store_b128 v0, v[109:112]
	ds_store_b128 v0, v[117:120] offset:2160
	ds_store_b128 v0, v[121:124] offset:4320
	v_mad_u16 v0, 0x195, v54, v55
	s_delay_alu instid0(VALU_DEP_1) | instskip(NEXT) | instid1(VALU_DEP_1)
	v_and_b32_e32 v0, 0xffff, v0
	v_lshlrev_b32_e32 v0, 4, v0
	;; [unrolled: 8-line block ×3, first 2 shown]
	scratch_store_b32 off, v0, off offset:576 ; 4-byte Folded Spill
	ds_store_b128 v0, v[67:70]
	ds_store_b128 v0, v[71:74] offset:2160
	ds_store_b128 v0, v[133:136] offset:4320
	v_lshlrev_b32_e32 v0, 5, v58
	scratch_store_b32 off, v58, off offset:556 ; 4-byte Folded Spill
	s_waitcnt lgkmcnt(0)
	s_waitcnt_vscnt null, 0x0
	s_barrier
	buffer_gl0_inv
	v_add_co_u32 v82, s22, s10, v0
	s_delay_alu instid0(VALU_DEP_1) | instskip(NEXT) | instid1(VALU_DEP_2)
	v_add_co_ci_u32_e64 v83, null, s11, 0, s22
	v_add_co_u32 v0, vcc_lo, 0x1000, v82
	s_delay_alu instid0(VALU_DEP_2)
	v_add_co_ci_u32_e32 v1, vcc_lo, 0, v83, vcc_lo
	v_add_co_u32 v2, vcc_lo, 0x1900, v82
	v_add_co_ci_u32_e32 v3, vcc_lo, 0, v83, vcc_lo
	s_clause 0x1
	global_load_b128 v[8:11], v[0:1], off offset:2304
	global_load_b128 v[4:7], v[2:3], off offset:16
	ds_load_b128 v[78:81], v75 offset:19440
	ds_load_b128 v[85:88], v75 offset:15552
	v_cmp_gt_u16_e64 vcc_lo, 0xa2, v158
	s_waitcnt vmcnt(1) lgkmcnt(1)
	v_mul_f64 v[0:1], v[80:81], v[10:11]
	v_mul_f64 v[2:3], v[78:79], v[10:11]
	scratch_store_b128 off, v[8:11], off offset:428 ; 16-byte Folded Spill
	v_fma_f64 v[0:1], v[78:79], v[8:9], -v[0:1]
	v_fma_f64 v[2:3], v[80:81], v[8:9], v[2:3]
	ds_load_b128 v[78:81], v75 offset:38880
	ds_load_b128 v[93:96], v75 offset:34992
	s_waitcnt vmcnt(0)
	v_dual_mov_b32 v11, v7 :: v_dual_mov_b32 v10, v6
	v_dual_mov_b32 v9, v5 :: v_dual_mov_b32 v8, v4
	scratch_store_b128 off, v[8:11], off offset:412 ; 16-byte Folded Spill
	s_waitcnt lgkmcnt(1)
	v_mul_f64 v[4:5], v[80:81], v[10:11]
	v_mul_f64 v[6:7], v[78:79], v[10:11]
	s_delay_alu instid0(VALU_DEP_2) | instskip(NEXT) | instid1(VALU_DEP_2)
	v_fma_f64 v[4:5], v[78:79], v[8:9], -v[4:5]
	v_fma_f64 v[6:7], v[80:81], v[8:9], v[6:7]
	v_add_co_u32 v8, s22, 0xffffff5e, v58
	s_delay_alu instid0(VALU_DEP_1) | instskip(NEXT) | instid1(VALU_DEP_1)
	v_add_co_ci_u32_e64 v9, null, 0, -1, s22
	v_dual_cndmask_b32 v24, v8, v41 :: v_dual_cndmask_b32 v25, v9, v60
	s_delay_alu instid0(VALU_DEP_1) | instskip(NEXT) | instid1(VALU_DEP_1)
	v_lshlrev_b64 v[8:9], 5, v[24:25]
	v_add_co_u32 v10, vcc_lo, s10, v8
	s_delay_alu instid0(VALU_DEP_2) | instskip(NEXT) | instid1(VALU_DEP_2)
	v_add_co_ci_u32_e32 v11, vcc_lo, s11, v9, vcc_lo
	v_add_co_u32 v8, vcc_lo, 0x1000, v10
	s_delay_alu instid0(VALU_DEP_2)
	v_add_co_ci_u32_e32 v9, vcc_lo, 0, v11, vcc_lo
	v_add_co_u32 v10, vcc_lo, 0x1900, v10
	v_add_co_ci_u32_e32 v11, vcc_lo, 0, v11, vcc_lo
	s_clause 0x1
	global_load_b128 v[16:19], v[8:9], off offset:2304
	global_load_b128 v[12:15], v[10:11], off offset:16
	s_waitcnt vmcnt(1)
	scratch_store_b128 off, v[16:19], off offset:460 ; 16-byte Folded Spill
	ds_load_b128 v[78:81], v75 offset:23328
	ds_load_b128 v[101:104], v75 offset:27216
	s_waitcnt lgkmcnt(1)
	v_mul_f64 v[8:9], v[80:81], v[18:19]
	v_mul_f64 v[10:11], v[78:79], v[18:19]
	s_delay_alu instid0(VALU_DEP_2) | instskip(NEXT) | instid1(VALU_DEP_2)
	v_fma_f64 v[8:9], v[78:79], v[16:17], -v[8:9]
	v_fma_f64 v[10:11], v[80:81], v[16:17], v[10:11]
	ds_load_b128 v[78:81], v75 offset:42768
	ds_load_b128 v[124:127], v75 offset:46656
	s_waitcnt vmcnt(0)
	v_dual_mov_b32 v19, v15 :: v_dual_mov_b32 v18, v14
	v_dual_mov_b32 v17, v13 :: v_dual_mov_b32 v16, v12
	scratch_store_b128 off, v[16:19], off offset:444 ; 16-byte Folded Spill
	s_waitcnt lgkmcnt(1)
	v_mul_f64 v[12:13], v[80:81], v[18:19]
	v_mul_f64 v[14:15], v[78:79], v[18:19]
	s_delay_alu instid0(VALU_DEP_2) | instskip(NEXT) | instid1(VALU_DEP_2)
	v_fma_f64 v[12:13], v[78:79], v[16:17], -v[12:13]
	v_fma_f64 v[14:15], v[80:81], v[16:17], v[14:15]
	v_add_co_u32 v16, vcc_lo, 0x2000, v82
	v_add_co_ci_u32_e32 v17, vcc_lo, 0, v83, vcc_lo
	v_add_co_u32 v18, vcc_lo, 0x2320, v82
	v_add_co_ci_u32_e32 v19, vcc_lo, 0, v83, vcc_lo
	global_load_b128 v[25:28], v[16:17], off offset:800
	ds_load_b128 v[78:81], v75 offset:31104
	global_load_b128 v[20:23], v[18:19], off offset:16
	s_waitcnt vmcnt(1)
	v_mul_f64 v[16:17], v[103:104], v[27:28]
	v_mul_f64 v[18:19], v[101:102], v[27:28]
	scratch_store_b128 off, v[25:28], off offset:476 ; 16-byte Folded Spill
	v_fma_f64 v[16:17], v[101:102], v[25:26], -v[16:17]
	v_fma_f64 v[18:19], v[103:104], v[25:26], v[18:19]
	s_waitcnt vmcnt(0)
	v_dual_mov_b32 v28, v23 :: v_dual_mov_b32 v27, v22
	v_dual_mov_b32 v26, v21 :: v_dual_mov_b32 v25, v20
	s_waitcnt lgkmcnt(1)
	s_delay_alu instid0(VALU_DEP_2)
	v_mul_f64 v[20:21], v[126:127], v[27:28]
	v_mul_f64 v[22:23], v[124:125], v[27:28]
	scratch_store_b128 off, v[25:28], off offset:492 ; 16-byte Folded Spill
	v_fma_f64 v[20:21], v[124:125], v[25:26], -v[20:21]
	v_fma_f64 v[22:23], v[126:127], v[25:26], v[22:23]
	v_mul_u32_u24_e32 v25, 0x43a3, v62
	s_delay_alu instid0(VALU_DEP_1) | instskip(NEXT) | instid1(VALU_DEP_1)
	v_lshrrev_b32_e32 v25, 16, v25
	v_sub_nc_u16 v26, v159, v25
	s_delay_alu instid0(VALU_DEP_1) | instskip(NEXT) | instid1(VALU_DEP_1)
	v_lshrrev_b16 v26, 1, v26
	v_add_nc_u16 v25, v26, v25
	s_delay_alu instid0(VALU_DEP_1) | instskip(NEXT) | instid1(VALU_DEP_1)
	v_lshrrev_b16 v50, 8, v25
	v_mul_lo_u16 v25, 0x195, v50
	s_delay_alu instid0(VALU_DEP_1) | instskip(NEXT) | instid1(VALU_DEP_1)
	v_sub_nc_u16 v51, v159, v25
	v_lshlrev_b16 v25, 5, v51
	s_delay_alu instid0(VALU_DEP_1) | instskip(NEXT) | instid1(VALU_DEP_1)
	v_and_b32_e32 v25, 0xffff, v25
	v_add_co_u32 v27, s22, s10, v25
	s_delay_alu instid0(VALU_DEP_1) | instskip(NEXT) | instid1(VALU_DEP_2)
	v_add_co_ci_u32_e64 v28, null, s11, 0, s22
	v_add_co_u32 v25, vcc_lo, 0x1000, v27
	s_delay_alu instid0(VALU_DEP_2)
	v_add_co_ci_u32_e32 v26, vcc_lo, 0, v28, vcc_lo
	v_add_co_u32 v27, vcc_lo, 0x1900, v27
	v_add_co_ci_u32_e32 v28, vcc_lo, 0, v28, vcc_lo
	s_clause 0x1
	global_load_b128 v[33:36], v[25:26], off offset:2304
	global_load_b128 v[29:32], v[27:28], off offset:16
	s_waitcnt vmcnt(1) lgkmcnt(0)
	v_mul_f64 v[25:26], v[80:81], v[35:36]
	v_mul_f64 v[27:28], v[78:79], v[35:36]
	scratch_store_b128 off, v[33:36], off offset:524 ; 16-byte Folded Spill
	v_fma_f64 v[25:26], v[78:79], v[33:34], -v[25:26]
	v_fma_f64 v[27:28], v[80:81], v[33:34], v[27:28]
	ds_load_b128 v[78:81], v75 offset:50544
	ds_load_b128 v[101:104], v75 offset:54432
	s_waitcnt vmcnt(0)
	v_dual_mov_b32 v36, v32 :: v_dual_mov_b32 v35, v31
	v_dual_mov_b32 v34, v30 :: v_dual_mov_b32 v33, v29
	scratch_store_b128 off, v[33:36], off offset:508 ; 16-byte Folded Spill
	s_waitcnt lgkmcnt(1)
	v_mul_f64 v[29:30], v[80:81], v[35:36]
	v_mul_f64 v[31:32], v[78:79], v[35:36]
	s_delay_alu instid0(VALU_DEP_2) | instskip(NEXT) | instid1(VALU_DEP_2)
	v_fma_f64 v[29:30], v[78:79], v[33:34], -v[29:30]
	v_fma_f64 v[31:32], v[80:81], v[33:34], v[31:32]
	v_mul_u32_u24_e32 v33, 0x43a3, v61
	s_delay_alu instid0(VALU_DEP_1) | instskip(NEXT) | instid1(VALU_DEP_1)
	v_lshrrev_b32_e32 v33, 16, v33
	v_sub_nc_u16 v34, v59, v33
	s_delay_alu instid0(VALU_DEP_1) | instskip(NEXT) | instid1(VALU_DEP_1)
	v_lshrrev_b16 v34, 1, v34
	v_add_nc_u16 v33, v34, v33
	s_delay_alu instid0(VALU_DEP_1) | instskip(NEXT) | instid1(VALU_DEP_1)
	v_lshrrev_b16 v33, 8, v33
	v_mul_lo_u16 v33, 0x195, v33
	s_delay_alu instid0(VALU_DEP_1) | instskip(NEXT) | instid1(VALU_DEP_1)
	v_sub_nc_u16 v52, v59, v33
	v_lshlrev_b16 v33, 5, v52
	s_delay_alu instid0(VALU_DEP_1) | instskip(NEXT) | instid1(VALU_DEP_1)
	v_and_b32_e32 v33, 0xffff, v33
	v_add_co_u32 v35, s22, s10, v33
	s_delay_alu instid0(VALU_DEP_1) | instskip(NEXT) | instid1(VALU_DEP_2)
	v_add_co_ci_u32_e64 v36, null, s11, 0, s22
	v_add_co_u32 v33, vcc_lo, 0x1000, v35
	s_delay_alu instid0(VALU_DEP_2)
	v_add_co_ci_u32_e32 v34, vcc_lo, 0, v36, vcc_lo
	v_add_co_u32 v35, vcc_lo, 0x1900, v35
	v_add_co_ci_u32_e32 v36, vcc_lo, 0, v36, vcc_lo
	global_load_b128 v[42:45], v[33:34], off offset:2304
	v_cmp_lt_u16_e64 vcc_lo, 0xa1, v158
	global_load_b128 v[37:40], v[35:36], off offset:16
	s_waitcnt vmcnt(1)
	v_mul_f64 v[33:34], v[95:96], v[44:45]
	v_mul_f64 v[35:36], v[93:94], v[44:45]
	scratch_store_b128 off, v[42:45], off offset:540 ; 16-byte Folded Spill
	v_fma_f64 v[33:34], v[93:94], v[42:43], -v[33:34]
	v_fma_f64 v[35:36], v[95:96], v[42:43], v[35:36]
	s_waitcnt vmcnt(0)
	v_dual_mov_b32 v45, v40 :: v_dual_mov_b32 v44, v39
	v_dual_mov_b32 v43, v38 :: v_dual_mov_b32 v42, v37
	s_waitcnt lgkmcnt(0)
	s_delay_alu instid0(VALU_DEP_2)
	v_mul_f64 v[37:38], v[103:104], v[44:45]
	v_mul_f64 v[39:40], v[101:102], v[44:45]
	scratch_store_b128 off, v[42:45], off offset:560 ; 16-byte Folded Spill
	v_add_f64 v[44:45], v[2:3], v[6:7]
	ds_load_b128 v[78:81], v75
	ds_load_b128 v[93:96], v75 offset:3888
	s_waitcnt lgkmcnt(1)
	v_add_f64 v[46:47], v[80:81], v[2:3]
	v_add_f64 v[48:49], v[78:79], v[0:1]
	v_add_f64 v[2:3], v[2:3], -v[6:7]
	v_fma_f64 v[37:38], v[101:102], v[42:43], -v[37:38]
	v_fma_f64 v[39:40], v[103:104], v[42:43], v[39:40]
	v_add_f64 v[42:43], v[0:1], v[4:5]
	v_fma_f64 v[44:45], v[44:45], -0.5, v[80:81]
	v_add_f64 v[0:1], v[0:1], -v[4:5]
	v_add_f64 v[80:81], v[46:47], v[6:7]
	s_waitcnt lgkmcnt(0)
	v_add_f64 v[6:7], v[93:94], v[8:9]
	v_fma_f64 v[42:43], v[42:43], -0.5, v[78:79]
	v_add_f64 v[78:79], v[48:49], v[4:5]
	v_add_f64 v[4:5], v[95:96], v[10:11]
	v_fma_f64 v[103:104], v[0:1], s[8:9], v[44:45]
	v_fma_f64 v[91:92], v[0:1], s[2:3], v[44:45]
	v_add_f64 v[0:1], v[8:9], v[12:13]
	v_fma_f64 v[101:102], v[2:3], s[2:3], v[42:43]
	v_fma_f64 v[89:90], v[2:3], s[8:9], v[42:43]
	v_add_f64 v[2:3], v[10:11], v[14:15]
	v_add_f64 v[10:11], v[10:11], -v[14:15]
	v_fma_f64 v[0:1], v[0:1], -0.5, v[93:94]
	v_add_f64 v[93:94], v[6:7], v[12:13]
	v_add_f64 v[6:7], v[18:19], v[22:23]
	v_fma_f64 v[2:3], v[2:3], -0.5, v[95:96]
	v_add_f64 v[95:96], v[4:5], v[14:15]
	v_add_f64 v[4:5], v[8:9], -v[12:13]
	v_fma_f64 v[60:61], v[10:11], s[2:3], v[0:1]
	v_fma_f64 v[64:65], v[10:11], s[8:9], v[0:1]
	v_add_f64 v[14:15], v[16:17], -v[20:21]
	v_add_f64 v[12:13], v[18:19], -v[22:23]
	v_fma_f64 v[62:63], v[4:5], s[8:9], v[2:3]
	v_fma_f64 v[66:67], v[4:5], s[2:3], v[2:3]
	v_add_f64 v[4:5], v[16:17], v[20:21]
	ds_load_b128 v[0:3], v75 offset:7776
	ds_load_b128 v[55:58], v75 offset:11664
	s_waitcnt lgkmcnt(0)
	s_waitcnt_vscnt null, 0x0
	s_barrier
	buffer_gl0_inv
	ds_store_b128 v75, v[78:81]
	ds_store_b128 v75, v[101:104] offset:6480
	ds_store_b128 v75, v[89:92] offset:12960
	v_fma_f64 v[6:7], v[6:7], -0.5, v[2:3]
	v_add_f64 v[2:3], v[2:3], v[18:19]
	v_fma_f64 v[4:5], v[4:5], -0.5, v[0:1]
	v_add_f64 v[0:1], v[0:1], v[16:17]
	s_delay_alu instid0(VALU_DEP_4) | instskip(NEXT) | instid1(VALU_DEP_4)
	v_fma_f64 v[18:19], v[14:15], s[2:3], v[6:7]
	v_add_f64 v[10:11], v[2:3], v[22:23]
	v_fma_f64 v[2:3], v[14:15], s[8:9], v[6:7]
	v_add_f64 v[6:7], v[27:28], v[31:32]
	v_add_f64 v[14:15], v[55:56], v[25:26]
	v_add_f64 v[22:23], v[25:26], -v[29:30]
	v_fma_f64 v[16:17], v[12:13], s[8:9], v[4:5]
	v_add_f64 v[8:9], v[0:1], v[20:21]
	v_fma_f64 v[0:1], v[12:13], s[2:3], v[4:5]
	v_add_f64 v[4:5], v[25:26], v[29:30]
	v_add_f64 v[12:13], v[57:58], v[27:28]
	v_add_f64 v[20:21], v[27:28], -v[31:32]
	v_add_f64 v[25:26], v[87:88], v[35:36]
	v_add_f64 v[27:28], v[85:86], v[33:34]
	v_fma_f64 v[6:7], v[6:7], -0.5, v[57:58]
	v_fma_f64 v[4:5], v[4:5], -0.5, v[55:56]
	v_add_f64 v[55:56], v[14:15], v[29:30]
	v_add_f64 v[57:58], v[12:13], v[31:32]
	v_add_f64 v[29:30], v[35:36], -v[39:40]
	v_fma_f64 v[14:15], v[22:23], s[8:9], v[6:7]
	v_fma_f64 v[22:23], v[22:23], s[2:3], v[6:7]
	v_add_f64 v[6:7], v[35:36], v[39:40]
	v_fma_f64 v[12:13], v[20:21], s[2:3], v[4:5]
	v_fma_f64 v[20:21], v[20:21], s[8:9], v[4:5]
	v_add_f64 v[4:5], v[33:34], v[37:38]
	s_delay_alu instid0(VALU_DEP_4) | instskip(SKIP_2) | instid1(VALU_DEP_4)
	v_fma_f64 v[6:7], v[6:7], -0.5, v[87:88]
	v_add_f64 v[87:88], v[25:26], v[39:40]
	v_add_f64 v[25:26], v[33:34], -v[37:38]
	v_fma_f64 v[4:5], v[4:5], -0.5, v[85:86]
	v_add_f64 v[85:86], v[27:28], v[37:38]
	s_delay_alu instid0(VALU_DEP_3) | instskip(SKIP_2) | instid1(VALU_DEP_1)
	v_fma_f64 v[99:100], v[25:26], s[8:9], v[6:7]
	v_fma_f64 v[6:7], v[25:26], s[2:3], v[6:7]
	v_cndmask_b32_e64 v25, 0, 0x4bf, vcc_lo
	v_add_lshl_u32 v108, v24, v25, 4
	ds_store_b128 v108, v[93:96]
	ds_store_b128 v108, v[60:63] offset:6480
	ds_store_b128 v108, v[64:67] offset:12960
	;; [unrolled: 1-line block ×5, first 2 shown]
	v_mad_u16 v0, 0x4bf, v50, v51
	v_fma_f64 v[97:98], v[29:30], s[2:3], v[4:5]
	v_fma_f64 v[4:5], v[29:30], s[8:9], v[4:5]
	s_delay_alu instid0(VALU_DEP_3) | instskip(NEXT) | instid1(VALU_DEP_1)
	v_and_b32_e32 v0, 0xffff, v0
	v_lshlrev_b32_e32 v0, 4, v0
	scratch_store_b32 off, v0, off offset:580 ; 4-byte Folded Spill
	ds_store_b128 v0, v[55:58]
	ds_store_b128 v0, v[12:15] offset:6480
	ds_store_b128 v0, v[20:23] offset:12960
	v_and_b32_e32 v0, 0xffff, v52
	s_delay_alu instid0(VALU_DEP_1)
	v_lshlrev_b32_e32 v74, 4, v0
	v_add_co_u32 v0, vcc_lo, 0x4000, v82
	v_add_co_ci_u32_e32 v1, vcc_lo, 0, v83, vcc_lo
	v_add_co_u32 v2, vcc_lo, 0x4ba0, v82
	v_add_co_ci_u32_e32 v3, vcc_lo, 0, v83, vcc_lo
	ds_store_b128 v74, v[85:88] offset:38880
	ds_store_b128 v74, v[97:100] offset:45360
	ds_store_b128 v74, v[4:7] offset:51840
	s_waitcnt lgkmcnt(0)
	s_waitcnt_vscnt null, 0x0
	s_barrier
	buffer_gl0_inv
	s_clause 0x1
	global_load_b128 v[13:16], v[0:1], off offset:2976
	global_load_b128 v[17:20], v[2:3], off offset:16
	ds_load_b128 v[0:3], v75 offset:19440
	ds_load_b128 v[9:12], v75 offset:15552
	s_waitcnt vmcnt(1) lgkmcnt(1)
	v_mul_f64 v[4:5], v[2:3], v[15:16]
	scratch_store_b128 off, v[13:16], off offset:268 ; 16-byte Folded Spill
	s_waitcnt vmcnt(0)
	v_mov_b32_e32 v22, v20
	v_dual_mov_b32 v21, v19 :: v_dual_mov_b32 v20, v18
	v_mov_b32_e32 v19, v17
	v_fma_f64 v[4:5], v[0:1], v[13:14], -v[4:5]
	v_mul_f64 v[0:1], v[0:1], v[15:16]
	s_delay_alu instid0(VALU_DEP_1) | instskip(SKIP_4) | instid1(VALU_DEP_1)
	v_fma_f64 v[6:7], v[2:3], v[13:14], v[0:1]
	ds_load_b128 v[0:3], v75 offset:38880
	ds_load_b128 v[13:16], v75 offset:34992
	s_waitcnt lgkmcnt(1)
	v_mul_f64 v[17:18], v[2:3], v[21:22]
	v_fma_f64 v[43:44], v[0:1], v[19:20], -v[17:18]
	v_mul_f64 v[0:1], v[0:1], v[21:22]
	s_delay_alu instid0(VALU_DEP_1) | instskip(SKIP_1) | instid1(VALU_DEP_1)
	v_fma_f64 v[23:24], v[2:3], v[19:20], v[0:1]
	v_lshlrev_b32_e32 v0, 5, v41
	v_add_co_u32 v2, s22, s10, v0
	s_delay_alu instid0(VALU_DEP_1) | instskip(NEXT) | instid1(VALU_DEP_2)
	v_add_co_ci_u32_e64 v3, null, s11, 0, s22
	v_add_co_u32 v0, vcc_lo, 0x4000, v2
	s_delay_alu instid0(VALU_DEP_2)
	v_add_co_ci_u32_e32 v1, vcc_lo, 0, v3, vcc_lo
	v_add_co_u32 v2, vcc_lo, 0x4ba0, v2
	v_add_co_ci_u32_e32 v3, vcc_lo, 0, v3, vcc_lo
	s_clause 0x1
	global_load_b128 v[33:36], v[0:1], off offset:2976
	global_load_b128 v[29:32], v[2:3], off offset:16
	scratch_store_b128 off, v[19:22], off offset:252 ; 16-byte Folded Spill
	s_waitcnt vmcnt(1)
	scratch_store_b128 off, v[33:36], off offset:300 ; 16-byte Folded Spill
	ds_load_b128 v[0:3], v75 offset:23328
	ds_load_b128 v[17:20], v75 offset:27216
	s_waitcnt lgkmcnt(1)
	v_mul_f64 v[25:26], v[2:3], v[35:36]
	s_delay_alu instid0(VALU_DEP_1) | instskip(SKIP_1) | instid1(VALU_DEP_1)
	v_fma_f64 v[25:26], v[0:1], v[33:34], -v[25:26]
	v_mul_f64 v[0:1], v[0:1], v[35:36]
	v_fma_f64 v[27:28], v[2:3], v[33:34], v[0:1]
	ds_load_b128 v[0:3], v75 offset:42768
	ds_load_b128 v[55:58], v75 offset:46656
	s_waitcnt vmcnt(0)
	v_mov_b32_e32 v34, v32
	v_dual_mov_b32 v33, v31 :: v_dual_mov_b32 v32, v30
	v_mov_b32_e32 v31, v29
	scratch_store_b128 off, v[31:34], off offset:284 ; 16-byte Folded Spill
	s_waitcnt lgkmcnt(1)
	v_mul_f64 v[29:30], v[2:3], v[33:34]
	s_delay_alu instid0(VALU_DEP_1) | instskip(SKIP_1) | instid1(VALU_DEP_1)
	v_fma_f64 v[29:30], v[0:1], v[31:32], -v[29:30]
	v_mul_f64 v[0:1], v[0:1], v[33:34]
	v_fma_f64 v[31:32], v[2:3], v[31:32], v[0:1]
	v_lshlrev_b32_e32 v0, 5, v84
	s_delay_alu instid0(VALU_DEP_1) | instskip(NEXT) | instid1(VALU_DEP_1)
	v_add_co_u32 v2, s22, s10, v0
	v_add_co_ci_u32_e64 v3, null, s11, 0, s22
	s_delay_alu instid0(VALU_DEP_2) | instskip(NEXT) | instid1(VALU_DEP_2)
	v_add_co_u32 v0, vcc_lo, 0x4000, v2
	v_add_co_ci_u32_e32 v1, vcc_lo, 0, v3, vcc_lo
	v_add_co_u32 v2, vcc_lo, 0x4ba0, v2
	v_add_co_ci_u32_e32 v3, vcc_lo, 0, v3, vcc_lo
	s_clause 0x1
	global_load_b128 v[45:48], v[0:1], off offset:2976
	global_load_b128 v[37:40], v[2:3], off offset:16
	s_waitcnt vmcnt(1)
	v_mul_f64 v[0:1], v[19:20], v[47:48]
	s_delay_alu instid0(VALU_DEP_1) | instskip(SKIP_1) | instid1(VALU_DEP_1)
	v_fma_f64 v[33:34], v[17:18], v[45:46], -v[0:1]
	v_mul_f64 v[0:1], v[17:18], v[47:48]
	v_fma_f64 v[35:36], v[19:20], v[45:46], v[0:1]
	s_waitcnt vmcnt(0)
	v_mov_b32_e32 v17, v37
	v_dual_mov_b32 v19, v39 :: v_dual_mov_b32 v20, v40
	v_mov_b32_e32 v18, v38
	scratch_store_b128 off, v[45:48], off offset:316 ; 16-byte Folded Spill
	s_waitcnt lgkmcnt(0)
	v_mul_f64 v[0:1], v[57:58], v[19:20]
	scratch_store_b128 off, v[17:20], off offset:332 ; 16-byte Folded Spill
	v_fma_f64 v[37:38], v[55:56], v[17:18], -v[0:1]
	v_mul_f64 v[0:1], v[55:56], v[19:20]
	s_delay_alu instid0(VALU_DEP_1) | instskip(SKIP_1) | instid1(VALU_DEP_1)
	v_fma_f64 v[39:40], v[57:58], v[17:18], v[0:1]
	v_lshlrev_b32_e32 v0, 5, v159
	v_add_co_u32 v2, s22, s10, v0
	s_delay_alu instid0(VALU_DEP_1) | instskip(NEXT) | instid1(VALU_DEP_2)
	v_add_co_ci_u32_e64 v3, null, s11, 0, s22
	v_add_co_u32 v0, vcc_lo, 0x4000, v2
	s_delay_alu instid0(VALU_DEP_2)
	v_add_co_ci_u32_e32 v1, vcc_lo, 0, v3, vcc_lo
	v_add_co_u32 v2, vcc_lo, 0x4ba0, v2
	v_add_co_ci_u32_e32 v3, vcc_lo, 0, v3, vcc_lo
	s_clause 0x1
	global_load_b128 v[19:22], v[0:1], off offset:2976
	global_load_b128 v[45:48], v[2:3], off offset:16
	ds_load_b128 v[0:3], v75 offset:31104
	s_waitcnt vmcnt(1) lgkmcnt(0)
	v_mul_f64 v[17:18], v[2:3], v[21:22]
	scratch_store_b128 off, v[19:22], off offset:364 ; 16-byte Folded Spill
	s_waitcnt vmcnt(0)
	scratch_store_b128 off, v[45:48], off offset:348 ; 16-byte Folded Spill
	v_fma_f64 v[57:58], v[0:1], v[19:20], -v[17:18]
	v_mul_f64 v[0:1], v[0:1], v[21:22]
	s_delay_alu instid0(VALU_DEP_1) | instskip(SKIP_4) | instid1(VALU_DEP_1)
	v_fma_f64 v[63:64], v[2:3], v[19:20], v[0:1]
	ds_load_b128 v[0:3], v75 offset:50544
	ds_load_b128 v[17:20], v75 offset:54432
	s_waitcnt lgkmcnt(1)
	v_mul_f64 v[41:42], v[2:3], v[47:48]
	v_fma_f64 v[65:66], v[0:1], v[45:46], -v[41:42]
	v_mul_f64 v[0:1], v[0:1], v[47:48]
	s_delay_alu instid0(VALU_DEP_1) | instskip(SKIP_1) | instid1(VALU_DEP_1)
	v_fma_f64 v[72:73], v[2:3], v[45:46], v[0:1]
	v_lshlrev_b32_e32 v0, 5, v59
	v_add_co_u32 v2, s10, s10, v0
	s_delay_alu instid0(VALU_DEP_1) | instskip(NEXT) | instid1(VALU_DEP_2)
	v_add_co_ci_u32_e64 v3, null, s11, 0, s10
	v_add_co_u32 v0, vcc_lo, 0x4000, v2
	s_delay_alu instid0(VALU_DEP_2)
	v_add_co_ci_u32_e32 v1, vcc_lo, 0, v3, vcc_lo
	v_add_co_u32 v2, vcc_lo, 0x4ba0, v2
	v_add_co_ci_u32_e32 v3, vcc_lo, 0, v3, vcc_lo
	s_clause 0x1
	global_load_b128 v[45:48], v[0:1], off offset:2976
	global_load_b128 v[49:52], v[2:3], off offset:16
	s_waitcnt vmcnt(1)
	v_mul_f64 v[0:1], v[15:16], v[47:48]
	scratch_store_b128 off, v[45:48], off offset:396 ; 16-byte Folded Spill
	s_waitcnt vmcnt(0)
	scratch_store_b128 off, v[49:52], off offset:380 ; 16-byte Folded Spill
	v_fma_f64 v[78:79], v[13:14], v[45:46], -v[0:1]
	v_mul_f64 v[0:1], v[13:14], v[47:48]
	s_delay_alu instid0(VALU_DEP_1) | instskip(SKIP_2) | instid1(VALU_DEP_1)
	v_fma_f64 v[109:110], v[15:16], v[45:46], v[0:1]
	s_waitcnt lgkmcnt(0)
	v_mul_f64 v[0:1], v[19:20], v[51:52]
	v_fma_f64 v[158:159], v[17:18], v[49:50], -v[0:1]
	v_mul_f64 v[0:1], v[17:18], v[51:52]
	v_add_f64 v[17:18], v[4:5], v[43:44]
	s_delay_alu instid0(VALU_DEP_2)
	v_fma_f64 v[21:22], v[19:20], v[49:50], v[0:1]
	ds_load_b128 v[0:3], v75
	ds_load_b128 v[13:16], v75 offset:3888
	s_waitcnt lgkmcnt(1)
	v_fma_f64 v[41:42], v[17:18], -0.5, v[0:1]
	v_add_f64 v[17:18], v[6:7], v[23:24]
	v_add_f64 v[0:1], v[0:1], v[4:5]
	s_delay_alu instid0(VALU_DEP_2) | instskip(NEXT) | instid1(VALU_DEP_2)
	v_fma_f64 v[45:46], v[17:18], -0.5, v[2:3]
	v_add_f64 v[17:18], v[0:1], v[43:44]
	v_add_f64 v[0:1], v[4:5], -v[43:44]
	v_add_f64 v[2:3], v[2:3], v[6:7]
	v_add_f64 v[6:7], v[6:7], -v[23:24]
	s_waitcnt lgkmcnt(0)
	v_add_f64 v[4:5], v[15:16], v[27:28]
	s_delay_alu instid0(VALU_DEP_4)
	v_fma_f64 v[55:56], v[0:1], s[8:9], v[45:46]
	v_fma_f64 v[61:62], v[0:1], s[2:3], v[45:46]
	v_add_f64 v[0:1], v[25:26], v[29:30]
	v_add_f64 v[19:20], v[2:3], v[23:24]
	;; [unrolled: 1-line block ×3, first 2 shown]
	v_add_f64 v[23:24], v[27:28], -v[31:32]
	v_fma_f64 v[53:54], v[6:7], s[2:3], v[41:42]
	v_fma_f64 v[59:60], v[6:7], s[8:9], v[41:42]
	v_add_f64 v[6:7], v[13:14], v[25:26]
	v_add_f64 v[27:28], v[35:36], -v[39:40]
	v_fma_f64 v[0:1], v[0:1], -0.5, v[13:14]
	v_fma_f64 v[2:3], v[2:3], -0.5, v[15:16]
	v_add_f64 v[15:16], v[4:5], v[31:32]
	v_add_f64 v[4:5], v[25:26], -v[29:30]
	v_add_f64 v[25:26], v[35:36], v[39:40]
	v_add_f64 v[13:14], v[6:7], v[29:30]
	v_add_f64 v[29:30], v[33:34], -v[37:38]
	v_fma_f64 v[45:46], v[23:24], s[2:3], v[0:1]
	v_fma_f64 v[49:50], v[23:24], s[8:9], v[0:1]
	v_add_f64 v[23:24], v[33:34], v[37:38]
	v_fma_f64 v[47:48], v[4:5], s[8:9], v[2:3]
	v_fma_f64 v[51:52], v[4:5], s[2:3], v[2:3]
	ds_load_b128 v[0:3], v75 offset:7776
	ds_load_b128 v[4:7], v75 offset:11664
	s_waitcnt lgkmcnt(1)
	v_fma_f64 v[25:26], v[25:26], -0.5, v[2:3]
	v_add_f64 v[2:3], v[2:3], v[35:36]
	v_add_f64 v[35:36], v[57:58], -v[65:66]
	v_fma_f64 v[23:24], v[23:24], -0.5, v[0:1]
	v_add_f64 v[0:1], v[0:1], v[33:34]
	v_fma_f64 v[43:44], v[29:30], s[2:3], v[25:26]
	v_add_f64 v[2:3], v[2:3], v[39:40]
	v_fma_f64 v[39:40], v[29:30], s[8:9], v[25:26]
	;; [unrolled: 2-line block ×4, first 2 shown]
	v_add_f64 v[23:24], v[57:58], v[65:66]
	v_add_f64 v[27:28], v[63:64], -v[72:73]
	s_waitcnt lgkmcnt(0)
	v_fma_f64 v[25:26], v[25:26], -0.5, v[6:7]
	v_add_f64 v[6:7], v[6:7], v[63:64]
	v_add_f64 v[63:64], v[78:79], -v[158:159]
	v_fma_f64 v[23:24], v[23:24], -0.5, v[4:5]
	v_add_f64 v[4:5], v[4:5], v[57:58]
	v_add_f64 v[57:58], v[109:110], -v[21:22]
	v_fma_f64 v[31:32], v[35:36], s[8:9], v[25:26]
	v_fma_f64 v[35:36], v[35:36], s[2:3], v[25:26]
	v_add_f64 v[6:7], v[6:7], v[72:73]
	v_fma_f64 v[29:30], v[27:28], s[2:3], v[23:24]
	v_fma_f64 v[33:34], v[27:28], s[8:9], v[23:24]
	v_add_f64 v[23:24], v[78:79], v[158:159]
	v_add_f64 v[4:5], v[4:5], v[65:66]
	s_delay_alu instid0(VALU_DEP_2) | instskip(SKIP_2) | instid1(VALU_DEP_2)
	v_fma_f64 v[25:26], v[23:24], -0.5, v[9:10]
	v_add_f64 v[23:24], v[109:110], v[21:22]
	v_add_f64 v[8:9], v[9:10], v[78:79]
	v_fma_f64 v[27:28], v[23:24], -0.5, v[11:12]
	v_add_f64 v[11:12], v[11:12], v[109:110]
	s_delay_alu instid0(VALU_DEP_3) | instskip(NEXT) | instid1(VALU_DEP_3)
	v_add_f64 v[8:9], v[8:9], v[158:159]
	v_fma_f64 v[23:24], v[63:64], s[8:9], v[27:28]
	s_delay_alu instid0(VALU_DEP_3)
	v_add_f64 v[10:11], v[11:12], v[21:22]
	v_fma_f64 v[21:22], v[57:58], s[2:3], v[25:26]
	v_fma_f64 v[25:26], v[57:58], s[8:9], v[25:26]
	;; [unrolled: 1-line block ×3, first 2 shown]
	ds_store_b128 v75, v[17:20]
	ds_store_b128 v75, v[13:16] offset:3888
	ds_store_b128 v75, v[0:3] offset:7776
	;; [unrolled: 1-line block ×14, first 2 shown]
	v_add_co_u32 v0, vcc_lo, 0xe000, v76
	v_add_co_ci_u32_e32 v1, vcc_lo, 0, v77, vcc_lo
	v_add_co_u32 v4, vcc_lo, 0xe3d0, v76
	v_add_co_ci_u32_e32 v5, vcc_lo, 0, v77, vcc_lo
	s_waitcnt lgkmcnt(0)
	s_waitcnt_vscnt null, 0x0
	s_barrier
	buffer_gl0_inv
	s_clause 0x1
	global_load_b128 v[0:3], v[0:1], off offset:976
	global_load_b128 v[4:7], v[4:5], off offset:3888
	ds_load_b128 v[8:11], v75
	ds_load_b128 v[12:15], v75 offset:3888
	s_waitcnt vmcnt(1) lgkmcnt(1)
	v_mul_f64 v[16:17], v[10:11], v[2:3]
	v_mul_f64 v[2:3], v[8:9], v[2:3]
	s_delay_alu instid0(VALU_DEP_2) | instskip(NEXT) | instid1(VALU_DEP_2)
	v_fma_f64 v[64:65], v[8:9], v[0:1], -v[16:17]
	v_fma_f64 v[66:67], v[10:11], v[0:1], v[2:3]
	v_add_co_u32 v0, vcc_lo, 0x11000, v76
	v_add_co_ci_u32_e32 v1, vcc_lo, 0, v77, vcc_lo
	v_add_co_u32 v8, vcc_lo, 0x13000, v76
	v_add_co_ci_u32_e32 v9, vcc_lo, 0, v77, vcc_lo
	s_clause 0x1
	global_load_b128 v[0:3], v[0:1], off offset:352
	global_load_b128 v[16:19], v[8:9], off offset:3824
	ds_load_b128 v[20:23], v75 offset:11664
	ds_load_b128 v[24:27], v75 offset:7776
	s_waitcnt vmcnt(1) lgkmcnt(1)
	v_mul_f64 v[8:9], v[22:23], v[2:3]
	v_mul_f64 v[2:3], v[20:21], v[2:3]
	s_delay_alu instid0(VALU_DEP_2) | instskip(NEXT) | instid1(VALU_DEP_2)
	v_fma_f64 v[60:61], v[20:21], v[0:1], -v[8:9]
	v_fma_f64 v[62:63], v[22:23], v[0:1], v[2:3]
	ds_load_b128 v[0:3], v75 offset:23328
	ds_load_b128 v[28:31], v75 offset:27216
	s_waitcnt vmcnt(0) lgkmcnt(1)
	v_mul_f64 v[8:9], v[2:3], v[18:19]
	v_mul_f64 v[10:11], v[0:1], v[18:19]
	s_delay_alu instid0(VALU_DEP_2) | instskip(SKIP_2) | instid1(VALU_DEP_4)
	v_fma_f64 v[20:21], v[0:1], v[16:17], -v[8:9]
	v_add_co_u32 v0, vcc_lo, 0x16000, v76
	v_add_co_ci_u32_e32 v1, vcc_lo, 0, v77, vcc_lo
	v_fma_f64 v[22:23], v[2:3], v[16:17], v[10:11]
	v_add_co_u32 v2, vcc_lo, 0x19000, v76
	v_add_co_ci_u32_e32 v3, vcc_lo, 0, v77, vcc_lo
	s_clause 0x1
	global_load_b128 v[16:19], v[0:1], off offset:3200
	global_load_b128 v[32:35], v[2:3], off offset:2576
	ds_load_b128 v[36:39], v75 offset:34992
	ds_load_b128 v[40:43], v75 offset:38880
	s_waitcnt vmcnt(1) lgkmcnt(1)
	v_mul_f64 v[0:1], v[38:39], v[18:19]
	v_mul_f64 v[2:3], v[36:37], v[18:19]
	s_delay_alu instid0(VALU_DEP_2) | instskip(NEXT) | instid1(VALU_DEP_2)
	v_fma_f64 v[36:37], v[36:37], v[16:17], -v[0:1]
	v_fma_f64 v[38:39], v[38:39], v[16:17], v[2:3]
	ds_load_b128 v[16:19], v75 offset:46656
	ds_load_b128 v[44:47], v75 offset:42768
	s_waitcnt vmcnt(0) lgkmcnt(1)
	v_mul_f64 v[0:1], v[18:19], v[34:35]
	v_mul_f64 v[2:3], v[16:17], v[34:35]
	s_delay_alu instid0(VALU_DEP_2) | instskip(SKIP_1) | instid1(VALU_DEP_3)
	v_fma_f64 v[16:17], v[16:17], v[32:33], -v[0:1]
	v_mul_f64 v[0:1], v[14:15], v[6:7]
	v_fma_f64 v[18:19], v[18:19], v[32:33], v[2:3]
	v_mul_f64 v[2:3], v[12:13], v[6:7]
	s_delay_alu instid0(VALU_DEP_3) | instskip(SKIP_2) | instid1(VALU_DEP_4)
	v_fma_f64 v[12:13], v[12:13], v[4:5], -v[0:1]
	v_add_co_u32 v0, vcc_lo, 0x12000, v76
	v_add_co_ci_u32_e32 v1, vcc_lo, 0, v77, vcc_lo
	v_fma_f64 v[14:15], v[14:15], v[4:5], v[2:3]
	s_clause 0x1
	global_load_b128 v[4:7], v[0:1], off offset:144
	global_load_b128 v[32:35], v[0:1], off offset:4032
	ds_load_b128 v[48:51], v75 offset:15552
	ds_load_b128 v[52:55], v75 offset:19440
	s_waitcnt vmcnt(1) lgkmcnt(1)
	v_mul_f64 v[0:1], v[50:51], v[6:7]
	v_mul_f64 v[2:3], v[48:49], v[6:7]
	s_delay_alu instid0(VALU_DEP_2) | instskip(SKIP_2) | instid1(VALU_DEP_4)
	v_fma_f64 v[48:49], v[48:49], v[4:5], -v[0:1]
	v_add_co_u32 v0, vcc_lo, 0x14000, v76
	v_add_co_ci_u32_e32 v1, vcc_lo, 0, v77, vcc_lo
	v_fma_f64 v[50:51], v[50:51], v[4:5], v[2:3]
	v_add_co_u32 v2, vcc_lo, 0x17000, v76
	v_add_co_ci_u32_e32 v3, vcc_lo, 0, v77, vcc_lo
	s_clause 0x1
	global_load_b128 v[4:7], v[0:1], off offset:3616
	global_load_b128 v[56:59], v[2:3], off offset:2992
	s_waitcnt vmcnt(1)
	v_mul_f64 v[0:1], v[30:31], v[6:7]
	v_mul_f64 v[2:3], v[28:29], v[6:7]
	s_delay_alu instid0(VALU_DEP_2) | instskip(SKIP_2) | instid1(VALU_DEP_3)
	v_fma_f64 v[28:29], v[28:29], v[4:5], -v[0:1]
	s_waitcnt vmcnt(0)
	v_mul_f64 v[0:1], v[42:43], v[58:59]
	v_fma_f64 v[30:31], v[30:31], v[4:5], v[2:3]
	v_mul_f64 v[2:3], v[40:41], v[58:59]
	s_delay_alu instid0(VALU_DEP_3) | instskip(SKIP_2) | instid1(VALU_DEP_4)
	v_fma_f64 v[8:9], v[40:41], v[56:57], -v[0:1]
	v_add_co_u32 v0, vcc_lo, 0x1a000, v76
	v_add_co_ci_u32_e32 v1, vcc_lo, 0, v77, vcc_lo
	v_fma_f64 v[10:11], v[42:43], v[56:57], v[2:3]
	v_add_co_u32 v2, vcc_lo, 0x10000, v76
	v_add_co_ci_u32_e32 v3, vcc_lo, 0, v77, vcc_lo
	s_clause 0x1
	global_load_b128 v[40:43], v[0:1], off offset:2368
	global_load_b128 v[56:59], v[2:3], off offset:560
	ds_load_b128 v[0:3], v75 offset:50544
	ds_load_b128 v[4:7], v75 offset:54432
	s_waitcnt vmcnt(1) lgkmcnt(1)
	v_mul_f64 v[72:73], v[2:3], v[42:43]
	v_mul_f64 v[42:43], v[0:1], v[42:43]
	s_delay_alu instid0(VALU_DEP_2) | instskip(NEXT) | instid1(VALU_DEP_2)
	v_fma_f64 v[0:1], v[0:1], v[40:41], -v[72:73]
	v_fma_f64 v[2:3], v[2:3], v[40:41], v[42:43]
	s_waitcnt vmcnt(0)
	v_mul_f64 v[40:41], v[26:27], v[58:59]
	v_mul_f64 v[42:43], v[24:25], v[58:59]
	s_delay_alu instid0(VALU_DEP_2) | instskip(SKIP_2) | instid1(VALU_DEP_4)
	v_fma_f64 v[24:25], v[24:25], v[56:57], -v[40:41]
	v_mul_f64 v[40:41], v[54:55], v[34:35]
	v_mul_f64 v[34:35], v[52:53], v[34:35]
	v_fma_f64 v[26:27], v[26:27], v[56:57], v[42:43]
	s_delay_alu instid0(VALU_DEP_3) | instskip(NEXT) | instid1(VALU_DEP_3)
	v_fma_f64 v[40:41], v[52:53], v[32:33], -v[40:41]
	v_fma_f64 v[42:43], v[54:55], v[32:33], v[34:35]
	v_add_co_u32 v32, vcc_lo, 0x15000, v76
	v_add_co_ci_u32_e32 v33, vcc_lo, 0, v77, vcc_lo
	v_add_co_u32 v52, vcc_lo, 0x18000, v76
	v_add_co_ci_u32_e32 v53, vcc_lo, 0, v77, vcc_lo
	s_clause 0x1
	global_load_b128 v[32:35], v[32:33], off offset:3408
	global_load_b128 v[52:55], v[52:53], off offset:2784
	ds_load_b128 v[56:59], v75 offset:31104
	s_waitcnt vmcnt(1) lgkmcnt(0)
	v_mul_f64 v[72:73], v[58:59], v[34:35]
	v_mul_f64 v[34:35], v[56:57], v[34:35]
	s_delay_alu instid0(VALU_DEP_2) | instskip(NEXT) | instid1(VALU_DEP_2)
	v_fma_f64 v[56:57], v[56:57], v[32:33], -v[72:73]
	v_fma_f64 v[58:59], v[58:59], v[32:33], v[34:35]
	s_waitcnt vmcnt(0)
	v_mul_f64 v[32:33], v[46:47], v[54:55]
	v_mul_f64 v[34:35], v[44:45], v[54:55]
	s_delay_alu instid0(VALU_DEP_2) | instskip(SKIP_2) | instid1(VALU_DEP_4)
	v_fma_f64 v[32:33], v[44:45], v[52:53], -v[32:33]
	v_add_co_u32 v44, vcc_lo, 0x1b000, v76
	v_add_co_ci_u32_e32 v45, vcc_lo, 0, v77, vcc_lo
	v_fma_f64 v[34:35], v[46:47], v[52:53], v[34:35]
	global_load_b128 v[44:47], v[44:45], off offset:2160
	s_waitcnt vmcnt(0)
	v_mul_f64 v[52:53], v[6:7], v[46:47]
	v_mul_f64 v[46:47], v[4:5], v[46:47]
	s_delay_alu instid0(VALU_DEP_2) | instskip(NEXT) | instid1(VALU_DEP_2)
	v_fma_f64 v[4:5], v[4:5], v[44:45], -v[52:53]
	v_fma_f64 v[6:7], v[6:7], v[44:45], v[46:47]
	ds_store_b128 v75, v[64:67]
	ds_store_b128 v75, v[12:15] offset:3888
	ds_store_b128 v75, v[20:23] offset:23328
	;; [unrolled: 1-line block ×14, first 2 shown]
	s_waitcnt lgkmcnt(0)
	s_barrier
	buffer_gl0_inv
	ds_load_b128 v[0:3], v75 offset:11664
	ds_load_b128 v[4:7], v75
	ds_load_b128 v[8:11], v75 offset:3888
	ds_load_b128 v[12:15], v75 offset:7776
	;; [unrolled: 1-line block ×4, first 2 shown]
	s_waitcnt lgkmcnt(4)
	v_add_f64 v[24:25], v[4:5], v[0:1]
	s_waitcnt lgkmcnt(1)
	v_add_f64 v[131:132], v[0:1], -v[16:17]
	v_add_f64 v[113:114], v[16:17], -v[0:1]
	;; [unrolled: 1-line block ×4, first 2 shown]
	v_add_f64 v[36:37], v[24:25], v[16:17]
	v_add_f64 v[24:25], v[6:7], v[2:3]
	s_delay_alu instid0(VALU_DEP_1)
	v_add_f64 v[38:39], v[24:25], v[18:19]
	ds_load_b128 v[24:27], v75 offset:34992
	ds_load_b128 v[28:31], v75 offset:38880
	s_waitcnt lgkmcnt(1)
	v_add_f64 v[111:112], v[16:17], v[24:25]
	v_add_f64 v[100:101], v[18:19], -v[26:27]
	v_add_f64 v[98:99], v[18:19], v[26:27]
	v_add_f64 v[50:51], v[16:17], -v[24:25]
	ds_load_b128 v[16:19], v75 offset:46656
	ds_load_b128 v[32:35], v75 offset:42768
	s_waitcnt lgkmcnt(2)
	v_add_f64 v[158:159], v[20:21], v[28:29]
	v_add_f64 v[42:43], v[22:23], -v[30:31]
	v_add_f64 v[86:87], v[22:23], v[30:31]
	v_add_f64 v[40:41], v[20:21], -v[28:29]
	s_waitcnt lgkmcnt(1)
	v_add_f64 v[56:57], v[2:3], -v[18:19]
	v_add_f64 v[58:59], v[0:1], v[16:17]
	v_add_f64 v[60:61], v[0:1], -v[16:17]
	v_add_f64 v[62:63], v[2:3], v[18:19]
	v_add_f64 v[0:1], v[36:37], v[24:25]
	v_add_f64 v[2:3], v[38:39], v[26:27]
	v_add_f64 v[64:65], v[16:17], -v[24:25]
	v_add_f64 v[66:67], v[24:25], -v[16:17]
	;; [unrolled: 1-line block ×4, first 2 shown]
	v_add_f64 v[0:1], v[0:1], v[16:17]
	v_add_f64 v[2:3], v[2:3], v[18:19]
	ds_load_b128 v[16:19], v75 offset:15552
	ds_load_b128 v[24:27], v75 offset:19440
	s_waitcnt lgkmcnt(1)
	v_add_f64 v[36:37], v[8:9], v[16:17]
	v_add_f64 v[127:128], v[16:17], -v[20:21]
	v_add_f64 v[84:85], v[20:21], -v[16:17]
	;; [unrolled: 1-line block ×4, first 2 shown]
	v_add_f64 v[78:79], v[36:37], v[20:21]
	v_add_f64 v[36:37], v[10:11], v[18:19]
	s_delay_alu instid0(VALU_DEP_1)
	v_add_f64 v[109:110], v[36:37], v[22:23]
	ds_load_b128 v[20:23], v75 offset:50544
	ds_load_b128 v[36:39], v75 offset:54432
	s_waitcnt lgkmcnt(1)
	v_add_f64 v[94:95], v[18:19], -v[22:23]
	v_add_f64 v[52:53], v[16:17], v[20:21]
	v_add_f64 v[92:93], v[16:17], -v[20:21]
	v_add_f64 v[54:55], v[18:19], v[22:23]
	v_add_f64 v[16:17], v[78:79], v[28:29]
	v_add_f64 v[78:79], v[20:21], -v[28:29]
	v_add_f64 v[102:103], v[28:29], -v[20:21]
	v_add_f64 v[28:29], v[12:13], v[24:25]
	v_add_f64 v[48:49], v[30:31], -v[22:23]
	s_waitcnt lgkmcnt(0)
	v_add_f64 v[68:69], v[24:25], v[36:37]
	v_add_f64 v[123:124], v[24:25], -v[36:37]
	v_add_f64 v[104:105], v[36:37], -v[32:33]
	;; [unrolled: 1-line block ×4, first 2 shown]
	v_add_f64 v[70:71], v[26:27], v[38:39]
	v_add_f64 v[96:97], v[38:39], -v[34:35]
	v_add_f64 v[133:134], v[34:35], -v[38:39]
	v_add_f64 v[18:19], v[109:110], v[30:31]
	v_add_f64 v[109:110], v[22:23], -v[30:31]
	v_add_f64 v[30:31], v[14:15], v[26:27]
	v_add_f64 v[44:45], v[16:17], v[20:21]
	s_delay_alu instid0(VALU_DEP_4)
	v_add_f64 v[46:47], v[18:19], v[22:23]
	ds_load_b128 v[20:23], v75 offset:31104
	s_waitcnt lgkmcnt(0)
	s_barrier
	buffer_gl0_inv
	v_add_f64 v[28:29], v[28:29], v[20:21]
	v_add_f64 v[121:122], v[24:25], -v[20:21]
	v_add_f64 v[88:89], v[20:21], -v[24:25]
	v_fma_f64 v[24:25], v[58:59], -0.5, v[4:5]
	v_add_f64 v[90:91], v[20:21], v[32:33]
	v_add_f64 v[16:17], v[20:21], -v[32:33]
	v_add_f64 v[30:31], v[30:31], v[22:23]
	v_add_f64 v[115:116], v[26:27], -v[22:23]
	v_add_f64 v[82:83], v[22:23], -v[26:27]
	v_fma_f64 v[26:27], v[62:63], -0.5, v[6:7]
	v_add_f64 v[18:19], v[22:23], -v[34:35]
	v_add_f64 v[117:118], v[22:23], v[34:35]
	v_add_f64 v[20:21], v[28:29], v[32:33]
	v_fma_f64 v[28:29], v[111:112], -0.5, v[4:5]
	v_add_f64 v[32:33], v[113:114], v[66:67]
	v_fma_f64 v[4:5], v[100:101], s[18:19], v[24:25]
	v_fma_f64 v[24:25], v[100:101], s[20:21], v[24:25]
	v_add_f64 v[22:23], v[30:31], v[34:35]
	v_fma_f64 v[30:31], v[98:99], -0.5, v[6:7]
	v_add_f64 v[34:35], v[106:107], v[76:77]
	v_fma_f64 v[6:7], v[50:51], s[20:21], v[26:27]
	v_fma_f64 v[26:27], v[50:51], s[18:19], v[26:27]
	v_add_f64 v[20:21], v[20:21], v[36:37]
	v_add_f64 v[36:37], v[131:132], v[64:65]
	v_fma_f64 v[4:5], v[56:57], s[14:15], v[4:5]
	v_fma_f64 v[24:25], v[56:57], s[12:13], v[24:25]
	v_add_f64 v[22:23], v[22:23], v[38:39]
	v_add_f64 v[38:39], v[129:130], v[72:73]
	v_fma_f64 v[6:7], v[60:61], s[12:13], v[6:7]
	v_fma_f64 v[26:27], v[60:61], s[14:15], v[26:27]
	;; [unrolled: 1-line block ×12, first 2 shown]
	s_delay_alu instid0(VALU_DEP_4) | instskip(NEXT) | instid1(VALU_DEP_4)
	v_fma_f64 v[34:35], v[50:51], s[12:13], v[34:35]
	v_fma_f64 v[50:51], v[50:51], s[14:15], v[30:31]
	s_delay_alu instid0(VALU_DEP_4) | instskip(NEXT) | instid1(VALU_DEP_4)
	v_fma_f64 v[28:29], v[36:37], s[16:17], v[32:33]
	v_fma_f64 v[32:33], v[36:37], s[16:17], v[56:57]
	scratch_load_b32 v36, off, off offset:248 ; 4-byte Folded Reload
	v_fma_f64 v[30:31], v[38:39], s[16:17], v[34:35]
	v_fma_f64 v[34:35], v[38:39], s[16:17], v[50:51]
	s_waitcnt vmcnt(0)
	ds_store_b128 v36, v[0:3]
	ds_store_b128 v36, v[28:31] offset:16
	ds_store_b128 v36, v[4:7] offset:32
	ds_store_b128 v36, v[24:27] offset:48
	ds_store_b128 v36, v[32:35] offset:64
	v_fma_f64 v[4:5], v[52:53], -0.5, v[8:9]
	v_fma_f64 v[6:7], v[54:55], -0.5, v[10:11]
	;; [unrolled: 1-line block ×4, first 2 shown]
	v_add_f64 v[10:11], v[84:85], v[102:103]
	v_add_f64 v[26:27], v[80:81], v[48:49]
	;; [unrolled: 1-line block ×4, first 2 shown]
	v_fma_f64 v[0:1], v[42:43], s[18:19], v[4:5]
	v_fma_f64 v[4:5], v[42:43], s[20:21], v[4:5]
	;; [unrolled: 1-line block ×4, first 2 shown]
	s_delay_alu instid0(VALU_DEP_4) | instskip(NEXT) | instid1(VALU_DEP_4)
	v_fma_f64 v[0:1], v[94:95], s[14:15], v[0:1]
	v_fma_f64 v[4:5], v[94:95], s[12:13], v[4:5]
	s_delay_alu instid0(VALU_DEP_4) | instskip(NEXT) | instid1(VALU_DEP_4)
	v_fma_f64 v[2:3], v[92:93], s[12:13], v[2:3]
	v_fma_f64 v[6:7], v[92:93], s[14:15], v[6:7]
	;; [unrolled: 3-line block ×3, first 2 shown]
	v_fma_f64 v[10:11], v[94:95], s[20:21], v[8:9]
	v_fma_f64 v[8:9], v[94:95], s[18:19], v[8:9]
	;; [unrolled: 1-line block ×8, first 2 shown]
	s_delay_alu instid0(VALU_DEP_4) | instskip(NEXT) | instid1(VALU_DEP_4)
	v_fma_f64 v[26:27], v[40:41], s[12:13], v[26:27]
	v_fma_f64 v[34:35], v[40:41], s[14:15], v[24:25]
	s_delay_alu instid0(VALU_DEP_4) | instskip(NEXT) | instid1(VALU_DEP_4)
	v_fma_f64 v[8:9], v[28:29], s[16:17], v[10:11]
	v_fma_f64 v[24:25], v[28:29], s[16:17], v[32:33]
	scratch_load_b32 v28, off, off offset:836 ; 4-byte Folded Reload
	v_fma_f64 v[10:11], v[30:31], s[16:17], v[26:27]
	v_fma_f64 v[26:27], v[30:31], s[16:17], v[34:35]
	s_waitcnt vmcnt(0)
	ds_store_b128 v28, v[44:47]
	ds_store_b128 v28, v[8:11] offset:16
	ds_store_b128 v28, v[0:3] offset:32
	;; [unrolled: 1-line block ×4, first 2 shown]
	v_fma_f64 v[4:5], v[68:69], -0.5, v[12:13]
	v_fma_f64 v[6:7], v[70:71], -0.5, v[14:15]
	;; [unrolled: 1-line block ×4, first 2 shown]
	v_add_f64 v[12:13], v[88:89], v[135:136]
	v_add_f64 v[14:15], v[82:83], v[133:134]
	;; [unrolled: 1-line block ×4, first 2 shown]
	v_fma_f64 v[0:1], v[18:19], s[18:19], v[4:5]
	v_fma_f64 v[2:3], v[16:17], s[20:21], v[6:7]
	;; [unrolled: 1-line block ×4, first 2 shown]
	s_delay_alu instid0(VALU_DEP_4) | instskip(NEXT) | instid1(VALU_DEP_4)
	v_fma_f64 v[0:1], v[125:126], s[14:15], v[0:1]
	v_fma_f64 v[2:3], v[123:124], s[12:13], v[2:3]
	s_delay_alu instid0(VALU_DEP_4) | instskip(NEXT) | instid1(VALU_DEP_4)
	v_fma_f64 v[4:5], v[125:126], s[12:13], v[4:5]
	v_fma_f64 v[6:7], v[123:124], s[14:15], v[6:7]
	;; [unrolled: 3-line block ×4, first 2 shown]
	v_fma_f64 v[12:13], v[125:126], s[20:21], v[8:9]
	v_fma_f64 v[14:15], v[123:124], s[18:19], v[10:11]
	;; [unrolled: 1-line block ×4, first 2 shown]
	s_delay_alu instid0(VALU_DEP_4) | instskip(NEXT) | instid1(VALU_DEP_4)
	v_fma_f64 v[12:13], v[18:19], s[14:15], v[12:13]
	v_fma_f64 v[14:15], v[16:17], s[12:13], v[14:15]
	s_delay_alu instid0(VALU_DEP_4) | instskip(NEXT) | instid1(VALU_DEP_4)
	v_fma_f64 v[18:19], v[18:19], s[12:13], v[8:9]
	v_fma_f64 v[16:17], v[16:17], s[14:15], v[10:11]
	;; [unrolled: 3-line block ×4, first 2 shown]
	ds_store_b128 v157, v[20:23]
	ds_store_b128 v157, v[8:11] offset:16
	ds_store_b128 v157, v[0:3] offset:32
	;; [unrolled: 1-line block ×4, first 2 shown]
	s_waitcnt lgkmcnt(0)
	s_barrier
	buffer_gl0_inv
	ds_load_b128 v[0:3], v75 offset:19440
	ds_load_b128 v[4:7], v75 offset:15552
	s_waitcnt lgkmcnt(1)
	v_mul_f64 v[8:9], v[178:179], v[2:3]
	s_delay_alu instid0(VALU_DEP_1) | instskip(SKIP_1) | instid1(VALU_DEP_1)
	v_fma_f64 v[20:21], v[176:177], v[0:1], v[8:9]
	v_mul_f64 v[0:1], v[178:179], v[0:1]
	v_fma_f64 v[22:23], v[176:177], v[2:3], -v[0:1]
	ds_load_b128 v[0:3], v75 offset:38880
	ds_load_b128 v[8:11], v75 offset:34992
	s_waitcnt lgkmcnt(1)
	v_mul_f64 v[12:13], v[182:183], v[2:3]
	s_delay_alu instid0(VALU_DEP_1) | instskip(SKIP_1) | instid1(VALU_DEP_1)
	v_fma_f64 v[24:25], v[180:181], v[0:1], v[12:13]
	v_mul_f64 v[0:1], v[182:183], v[0:1]
	v_fma_f64 v[26:27], v[180:181], v[2:3], -v[0:1]
	;; [unrolled: 8-line block ×4, first 2 shown]
	v_mul_f64 v[0:1], v[162:163], v[14:15]
	s_delay_alu instid0(VALU_DEP_1) | instskip(SKIP_1) | instid1(VALU_DEP_1)
	v_fma_f64 v[36:37], v[160:161], v[12:13], v[0:1]
	v_mul_f64 v[0:1], v[162:163], v[12:13]
	v_fma_f64 v[38:39], v[160:161], v[14:15], -v[0:1]
	s_waitcnt lgkmcnt(0)
	v_mul_f64 v[0:1], v[166:167], v[18:19]
	s_delay_alu instid0(VALU_DEP_1) | instskip(SKIP_1) | instid1(VALU_DEP_1)
	v_fma_f64 v[40:41], v[164:165], v[16:17], v[0:1]
	v_mul_f64 v[0:1], v[166:167], v[16:17]
	v_fma_f64 v[42:43], v[164:165], v[18:19], -v[0:1]
	ds_load_b128 v[0:3], v75 offset:31104
	s_waitcnt lgkmcnt(0)
	v_mul_f64 v[12:13], v[151:152], v[2:3]
	s_delay_alu instid0(VALU_DEP_1) | instskip(SKIP_1) | instid1(VALU_DEP_1)
	v_fma_f64 v[44:45], v[149:150], v[0:1], v[12:13]
	v_mul_f64 v[0:1], v[151:152], v[0:1]
	v_fma_f64 v[46:47], v[149:150], v[2:3], -v[0:1]
	ds_load_b128 v[0:3], v75 offset:50544
	ds_load_b128 v[12:15], v75 offset:54432
	s_waitcnt lgkmcnt(1)
	v_mul_f64 v[16:17], v[155:156], v[2:3]
	s_delay_alu instid0(VALU_DEP_1) | instskip(SKIP_2) | instid1(VALU_DEP_2)
	v_fma_f64 v[48:49], v[153:154], v[0:1], v[16:17]
	v_mul_f64 v[0:1], v[155:156], v[0:1]
	v_add_f64 v[16:17], v[22:23], -v[26:27]
	v_fma_f64 v[50:51], v[153:154], v[2:3], -v[0:1]
	v_mul_f64 v[0:1], v[143:144], v[10:11]
	s_delay_alu instid0(VALU_DEP_1) | instskip(SKIP_1) | instid1(VALU_DEP_1)
	v_fma_f64 v[52:53], v[141:142], v[8:9], v[0:1]
	v_mul_f64 v[0:1], v[143:144], v[8:9]
	v_fma_f64 v[54:55], v[141:142], v[10:11], -v[0:1]
	s_waitcnt lgkmcnt(0)
	v_mul_f64 v[0:1], v[147:148], v[14:15]
	s_delay_alu instid0(VALU_DEP_1) | instskip(SKIP_2) | instid1(VALU_DEP_2)
	v_fma_f64 v[56:57], v[145:146], v[12:13], v[0:1]
	v_mul_f64 v[0:1], v[147:148], v[12:13]
	v_add_f64 v[12:13], v[20:21], v[24:25]
	v_fma_f64 v[58:59], v[145:146], v[14:15], -v[0:1]
	ds_load_b128 v[0:3], v75
	ds_load_b128 v[8:11], v75 offset:3888
	s_waitcnt lgkmcnt(1)
	v_fma_f64 v[14:15], v[12:13], -0.5, v[0:1]
	v_add_f64 v[12:13], v[22:23], v[26:27]
	v_add_f64 v[0:1], v[0:1], v[20:21]
	v_add_f64 v[20:21], v[20:21], -v[24:25]
	s_delay_alu instid0(VALU_DEP_3) | instskip(SKIP_1) | instid1(VALU_DEP_4)
	v_fma_f64 v[18:19], v[12:13], -0.5, v[2:3]
	v_add_f64 v[2:3], v[2:3], v[22:23]
	v_add_f64 v[0:1], v[0:1], v[24:25]
	v_fma_f64 v[12:13], v[16:17], s[8:9], v[14:15]
	v_fma_f64 v[16:17], v[16:17], s[2:3], v[14:15]
	;; [unrolled: 1-line block ×3, first 2 shown]
	v_add_f64 v[2:3], v[2:3], v[26:27]
	v_fma_f64 v[18:19], v[20:21], s[8:9], v[18:19]
	ds_load_b128 v[20:23], v75 offset:7776
	ds_load_b128 v[24:27], v75 offset:11664
	s_waitcnt lgkmcnt(0)
	s_barrier
	buffer_gl0_inv
	scratch_load_b32 v60, off, off offset:832 ; 4-byte Folded Reload
	s_waitcnt vmcnt(0)
	ds_store_b128 v60, v[0:3]
	ds_store_b128 v60, v[12:15] offset:80
	ds_store_b128 v60, v[16:19] offset:160
	v_add_f64 v[0:1], v[28:29], v[32:33]
	v_add_f64 v[16:17], v[28:29], -v[32:33]
	s_delay_alu instid0(VALU_DEP_2) | instskip(SKIP_2) | instid1(VALU_DEP_2)
	v_fma_f64 v[12:13], v[0:1], -0.5, v[8:9]
	v_add_f64 v[0:1], v[30:31], v[34:35]
	v_add_f64 v[8:9], v[8:9], v[28:29]
	v_fma_f64 v[14:15], v[0:1], -0.5, v[10:11]
	v_add_f64 v[0:1], v[10:11], v[30:31]
	v_add_f64 v[10:11], v[30:31], -v[34:35]
	s_delay_alu instid0(VALU_DEP_2) | instskip(SKIP_1) | instid1(VALU_DEP_3)
	v_add_f64 v[2:3], v[0:1], v[34:35]
	v_add_f64 v[0:1], v[8:9], v[32:33]
	v_fma_f64 v[8:9], v[10:11], s[8:9], v[12:13]
	v_fma_f64 v[12:13], v[10:11], s[2:3], v[12:13]
	v_fma_f64 v[10:11], v[16:17], s[2:3], v[14:15]
	v_fma_f64 v[14:15], v[16:17], s[8:9], v[14:15]
	scratch_load_b32 v16, off, off offset:828 ; 4-byte Folded Reload
	s_waitcnt vmcnt(0)
	ds_store_b128 v16, v[0:3]
	ds_store_b128 v16, v[8:11] offset:80
	ds_store_b128 v16, v[12:15] offset:160
	v_add_f64 v[0:1], v[36:37], v[40:41]
	v_add_f64 v[8:9], v[20:21], v[36:37]
	v_add_f64 v[12:13], v[38:39], -v[42:43]
	v_add_f64 v[16:17], v[36:37], -v[40:41]
	s_delay_alu instid0(VALU_DEP_4) | instskip(SKIP_1) | instid1(VALU_DEP_1)
	v_fma_f64 v[10:11], v[0:1], -0.5, v[20:21]
	v_add_f64 v[0:1], v[38:39], v[42:43]
	v_fma_f64 v[14:15], v[0:1], -0.5, v[22:23]
	v_add_f64 v[0:1], v[22:23], v[38:39]
	s_delay_alu instid0(VALU_DEP_1)
	v_add_f64 v[2:3], v[0:1], v[42:43]
	v_add_f64 v[0:1], v[8:9], v[40:41]
	v_fma_f64 v[8:9], v[12:13], s[8:9], v[10:11]
	v_fma_f64 v[12:13], v[12:13], s[2:3], v[10:11]
	;; [unrolled: 1-line block ×4, first 2 shown]
	scratch_load_b32 v16, off, off offset:824 ; 4-byte Folded Reload
	s_waitcnt vmcnt(0)
	ds_store_b128 v16, v[0:3]
	ds_store_b128 v16, v[8:11] offset:80
	ds_store_b128 v16, v[12:15] offset:160
	v_add_f64 v[0:1], v[44:45], v[48:49]
	v_add_f64 v[8:9], v[24:25], v[44:45]
	v_add_f64 v[12:13], v[46:47], -v[50:51]
	v_add_f64 v[16:17], v[44:45], -v[48:49]
	s_delay_alu instid0(VALU_DEP_4) | instskip(SKIP_1) | instid1(VALU_DEP_1)
	v_fma_f64 v[10:11], v[0:1], -0.5, v[24:25]
	v_add_f64 v[0:1], v[46:47], v[50:51]
	v_fma_f64 v[14:15], v[0:1], -0.5, v[26:27]
	v_add_f64 v[0:1], v[26:27], v[46:47]
	s_delay_alu instid0(VALU_DEP_1)
	v_add_f64 v[2:3], v[0:1], v[50:51]
	v_add_f64 v[0:1], v[8:9], v[48:49]
	v_fma_f64 v[8:9], v[12:13], s[8:9], v[10:11]
	v_fma_f64 v[12:13], v[12:13], s[2:3], v[10:11]
	;; [unrolled: 1-line block ×4, first 2 shown]
	scratch_load_b32 v16, off, off offset:820 ; 4-byte Folded Reload
	s_waitcnt vmcnt(0)
	ds_store_b128 v16, v[0:3]
	ds_store_b128 v16, v[8:11] offset:80
	ds_store_b128 v16, v[12:15] offset:160
	v_add_f64 v[0:1], v[52:53], v[56:57]
	v_add_f64 v[12:13], v[52:53], -v[56:57]
	s_delay_alu instid0(VALU_DEP_2) | instskip(SKIP_2) | instid1(VALU_DEP_2)
	v_fma_f64 v[8:9], v[0:1], -0.5, v[4:5]
	v_add_f64 v[0:1], v[54:55], v[58:59]
	v_add_f64 v[4:5], v[4:5], v[52:53]
	v_fma_f64 v[10:11], v[0:1], -0.5, v[6:7]
	v_add_f64 v[0:1], v[6:7], v[54:55]
	v_add_f64 v[6:7], v[54:55], -v[58:59]
	s_delay_alu instid0(VALU_DEP_2) | instskip(SKIP_1) | instid1(VALU_DEP_3)
	v_add_f64 v[2:3], v[0:1], v[58:59]
	v_add_f64 v[0:1], v[4:5], v[56:57]
	v_fma_f64 v[4:5], v[6:7], s[8:9], v[8:9]
	v_fma_f64 v[8:9], v[6:7], s[2:3], v[8:9]
	v_fma_f64 v[6:7], v[12:13], s[2:3], v[10:11]
	v_fma_f64 v[10:11], v[12:13], s[8:9], v[10:11]
	scratch_load_b32 v12, off, off offset:816 ; 4-byte Folded Reload
	s_waitcnt vmcnt(0)
	ds_store_b128 v12, v[0:3]
	ds_store_b128 v12, v[4:7] offset:80
	ds_store_b128 v12, v[8:11] offset:160
	s_waitcnt lgkmcnt(0)
	s_barrier
	buffer_gl0_inv
	ds_load_b128 v[0:3], v75 offset:19440
	ds_load_b128 v[4:7], v75 offset:15552
	s_waitcnt lgkmcnt(1)
	v_mul_f64 v[8:9], v[226:227], v[2:3]
	s_delay_alu instid0(VALU_DEP_1) | instskip(SKIP_1) | instid1(VALU_DEP_1)
	v_fma_f64 v[20:21], v[224:225], v[0:1], v[8:9]
	v_mul_f64 v[0:1], v[226:227], v[0:1]
	v_fma_f64 v[22:23], v[224:225], v[2:3], -v[0:1]
	ds_load_b128 v[0:3], v75 offset:38880
	ds_load_b128 v[8:11], v75 offset:34992
	s_waitcnt lgkmcnt(1)
	v_mul_f64 v[12:13], v[222:223], v[2:3]
	s_delay_alu instid0(VALU_DEP_1) | instskip(SKIP_1) | instid1(VALU_DEP_1)
	v_fma_f64 v[24:25], v[220:221], v[0:1], v[12:13]
	v_mul_f64 v[0:1], v[222:223], v[0:1]
	v_fma_f64 v[26:27], v[220:221], v[2:3], -v[0:1]
	;; [unrolled: 8-line block ×4, first 2 shown]
	v_mul_f64 v[0:1], v[242:243], v[14:15]
	s_delay_alu instid0(VALU_DEP_1) | instskip(SKIP_1) | instid1(VALU_DEP_1)
	v_fma_f64 v[36:37], v[240:241], v[12:13], v[0:1]
	v_mul_f64 v[0:1], v[242:243], v[12:13]
	v_fma_f64 v[38:39], v[240:241], v[14:15], -v[0:1]
	s_waitcnt lgkmcnt(0)
	v_mul_f64 v[0:1], v[238:239], v[18:19]
	s_delay_alu instid0(VALU_DEP_1) | instskip(SKIP_1) | instid1(VALU_DEP_1)
	v_fma_f64 v[40:41], v[236:237], v[16:17], v[0:1]
	v_mul_f64 v[0:1], v[238:239], v[16:17]
	v_fma_f64 v[42:43], v[236:237], v[18:19], -v[0:1]
	ds_load_b128 v[0:3], v75 offset:31104
	s_waitcnt lgkmcnt(0)
	v_mul_f64 v[12:13], v[250:251], v[2:3]
	s_delay_alu instid0(VALU_DEP_1) | instskip(SKIP_1) | instid1(VALU_DEP_1)
	v_fma_f64 v[44:45], v[248:249], v[0:1], v[12:13]
	v_mul_f64 v[0:1], v[250:251], v[0:1]
	v_fma_f64 v[46:47], v[248:249], v[2:3], -v[0:1]
	ds_load_b128 v[0:3], v75 offset:50544
	ds_load_b128 v[12:15], v75 offset:54432
	s_waitcnt lgkmcnt(1)
	v_mul_f64 v[16:17], v[246:247], v[2:3]
	s_delay_alu instid0(VALU_DEP_1) | instskip(SKIP_2) | instid1(VALU_DEP_2)
	v_fma_f64 v[48:49], v[244:245], v[0:1], v[16:17]
	v_mul_f64 v[0:1], v[246:247], v[0:1]
	v_add_f64 v[16:17], v[22:23], -v[26:27]
	v_fma_f64 v[50:51], v[244:245], v[2:3], -v[0:1]
	v_mul_f64 v[0:1], v[186:187], v[10:11]
	s_delay_alu instid0(VALU_DEP_1) | instskip(SKIP_1) | instid1(VALU_DEP_1)
	v_fma_f64 v[52:53], v[184:185], v[8:9], v[0:1]
	v_mul_f64 v[0:1], v[186:187], v[8:9]
	v_fma_f64 v[54:55], v[184:185], v[10:11], -v[0:1]
	s_waitcnt lgkmcnt(0)
	v_mul_f64 v[0:1], v[254:255], v[14:15]
	s_delay_alu instid0(VALU_DEP_1) | instskip(SKIP_2) | instid1(VALU_DEP_2)
	v_fma_f64 v[56:57], v[252:253], v[12:13], v[0:1]
	v_mul_f64 v[0:1], v[254:255], v[12:13]
	v_add_f64 v[12:13], v[20:21], v[24:25]
	v_fma_f64 v[58:59], v[252:253], v[14:15], -v[0:1]
	ds_load_b128 v[0:3], v75
	ds_load_b128 v[8:11], v75 offset:3888
	s_waitcnt lgkmcnt(1)
	v_fma_f64 v[14:15], v[12:13], -0.5, v[0:1]
	v_add_f64 v[12:13], v[22:23], v[26:27]
	v_add_f64 v[0:1], v[0:1], v[20:21]
	v_add_f64 v[20:21], v[20:21], -v[24:25]
	s_delay_alu instid0(VALU_DEP_3) | instskip(SKIP_1) | instid1(VALU_DEP_4)
	v_fma_f64 v[18:19], v[12:13], -0.5, v[2:3]
	v_add_f64 v[2:3], v[2:3], v[22:23]
	v_add_f64 v[0:1], v[0:1], v[24:25]
	v_fma_f64 v[12:13], v[16:17], s[8:9], v[14:15]
	v_fma_f64 v[16:17], v[16:17], s[2:3], v[14:15]
	;; [unrolled: 1-line block ×3, first 2 shown]
	v_add_f64 v[2:3], v[2:3], v[26:27]
	v_fma_f64 v[18:19], v[20:21], s[8:9], v[18:19]
	ds_load_b128 v[20:23], v75 offset:7776
	ds_load_b128 v[24:27], v75 offset:11664
	s_waitcnt lgkmcnt(0)
	s_barrier
	buffer_gl0_inv
	scratch_load_b32 v60, off, off offset:812 ; 4-byte Folded Reload
	s_waitcnt vmcnt(0)
	ds_store_b128 v60, v[0:3]
	ds_store_b128 v60, v[12:15] offset:240
	ds_store_b128 v60, v[16:19] offset:480
	v_add_f64 v[0:1], v[28:29], v[32:33]
	v_add_f64 v[16:17], v[28:29], -v[32:33]
	s_delay_alu instid0(VALU_DEP_2) | instskip(SKIP_2) | instid1(VALU_DEP_2)
	v_fma_f64 v[12:13], v[0:1], -0.5, v[8:9]
	v_add_f64 v[0:1], v[30:31], v[34:35]
	v_add_f64 v[8:9], v[8:9], v[28:29]
	v_fma_f64 v[14:15], v[0:1], -0.5, v[10:11]
	v_add_f64 v[0:1], v[10:11], v[30:31]
	v_add_f64 v[10:11], v[30:31], -v[34:35]
	s_delay_alu instid0(VALU_DEP_2) | instskip(SKIP_1) | instid1(VALU_DEP_3)
	v_add_f64 v[2:3], v[0:1], v[34:35]
	v_add_f64 v[0:1], v[8:9], v[32:33]
	v_fma_f64 v[8:9], v[10:11], s[8:9], v[12:13]
	v_fma_f64 v[12:13], v[10:11], s[2:3], v[12:13]
	;; [unrolled: 1-line block ×4, first 2 shown]
	scratch_load_b32 v16, off, off offset:808 ; 4-byte Folded Reload
	s_waitcnt vmcnt(0)
	ds_store_b128 v16, v[0:3]
	ds_store_b128 v16, v[8:11] offset:240
	ds_store_b128 v16, v[12:15] offset:480
	v_add_f64 v[0:1], v[36:37], v[40:41]
	v_add_f64 v[8:9], v[20:21], v[36:37]
	v_add_f64 v[12:13], v[38:39], -v[42:43]
	v_add_f64 v[16:17], v[36:37], -v[40:41]
	s_delay_alu instid0(VALU_DEP_4) | instskip(SKIP_1) | instid1(VALU_DEP_1)
	v_fma_f64 v[10:11], v[0:1], -0.5, v[20:21]
	v_add_f64 v[0:1], v[38:39], v[42:43]
	v_fma_f64 v[14:15], v[0:1], -0.5, v[22:23]
	v_add_f64 v[0:1], v[22:23], v[38:39]
	s_delay_alu instid0(VALU_DEP_1)
	v_add_f64 v[2:3], v[0:1], v[42:43]
	v_add_f64 v[0:1], v[8:9], v[40:41]
	v_fma_f64 v[8:9], v[12:13], s[8:9], v[10:11]
	v_fma_f64 v[12:13], v[12:13], s[2:3], v[10:11]
	;; [unrolled: 1-line block ×4, first 2 shown]
	scratch_load_b32 v16, off, off offset:804 ; 4-byte Folded Reload
	s_waitcnt vmcnt(0)
	ds_store_b128 v16, v[0:3]
	ds_store_b128 v16, v[8:11] offset:240
	ds_store_b128 v16, v[12:15] offset:480
	v_add_f64 v[0:1], v[44:45], v[48:49]
	v_add_f64 v[8:9], v[24:25], v[44:45]
	v_add_f64 v[12:13], v[46:47], -v[50:51]
	v_add_f64 v[16:17], v[44:45], -v[48:49]
	s_delay_alu instid0(VALU_DEP_4) | instskip(SKIP_1) | instid1(VALU_DEP_1)
	v_fma_f64 v[10:11], v[0:1], -0.5, v[24:25]
	v_add_f64 v[0:1], v[46:47], v[50:51]
	v_fma_f64 v[14:15], v[0:1], -0.5, v[26:27]
	v_add_f64 v[0:1], v[26:27], v[46:47]
	s_delay_alu instid0(VALU_DEP_1)
	v_add_f64 v[2:3], v[0:1], v[50:51]
	v_add_f64 v[0:1], v[8:9], v[48:49]
	v_fma_f64 v[8:9], v[12:13], s[8:9], v[10:11]
	v_fma_f64 v[12:13], v[12:13], s[2:3], v[10:11]
	v_fma_f64 v[10:11], v[16:17], s[2:3], v[14:15]
	v_fma_f64 v[14:15], v[16:17], s[8:9], v[14:15]
	scratch_load_b32 v16, off, off offset:800 ; 4-byte Folded Reload
	s_waitcnt vmcnt(0)
	ds_store_b128 v16, v[0:3]
	ds_store_b128 v16, v[8:11] offset:240
	ds_store_b128 v16, v[12:15] offset:480
	v_add_f64 v[0:1], v[52:53], v[56:57]
	v_add_f64 v[12:13], v[52:53], -v[56:57]
	s_delay_alu instid0(VALU_DEP_2) | instskip(SKIP_2) | instid1(VALU_DEP_2)
	v_fma_f64 v[8:9], v[0:1], -0.5, v[4:5]
	v_add_f64 v[0:1], v[54:55], v[58:59]
	v_add_f64 v[4:5], v[4:5], v[52:53]
	v_fma_f64 v[10:11], v[0:1], -0.5, v[6:7]
	v_add_f64 v[0:1], v[6:7], v[54:55]
	v_add_f64 v[6:7], v[54:55], -v[58:59]
	s_delay_alu instid0(VALU_DEP_2) | instskip(SKIP_1) | instid1(VALU_DEP_3)
	v_add_f64 v[2:3], v[0:1], v[58:59]
	v_add_f64 v[0:1], v[4:5], v[56:57]
	v_fma_f64 v[4:5], v[6:7], s[8:9], v[8:9]
	v_fma_f64 v[8:9], v[6:7], s[2:3], v[8:9]
	;; [unrolled: 1-line block ×4, first 2 shown]
	scratch_load_b32 v12, off, off offset:796 ; 4-byte Folded Reload
	s_waitcnt vmcnt(0)
	ds_store_b128 v12, v[0:3]
	ds_store_b128 v12, v[4:7] offset:240
	ds_store_b128 v12, v[8:11] offset:480
	s_waitcnt lgkmcnt(0)
	s_barrier
	buffer_gl0_inv
	ds_load_b128 v[0:3], v75 offset:19440
	ds_load_b128 v[4:7], v75 offset:15552
	scratch_load_b128 v[10:13], off, off offset:780 ; 16-byte Folded Reload
	s_waitcnt vmcnt(0) lgkmcnt(1)
	v_mul_f64 v[8:9], v[12:13], v[2:3]
	s_delay_alu instid0(VALU_DEP_1) | instskip(SKIP_1) | instid1(VALU_DEP_1)
	v_fma_f64 v[20:21], v[10:11], v[0:1], v[8:9]
	v_mul_f64 v[0:1], v[12:13], v[0:1]
	v_fma_f64 v[22:23], v[10:11], v[2:3], -v[0:1]
	ds_load_b128 v[0:3], v75 offset:38880
	ds_load_b128 v[8:11], v75 offset:34992
	scratch_load_b128 v[14:17], off, off offset:764 ; 16-byte Folded Reload
	s_waitcnt vmcnt(0) lgkmcnt(1)
	v_mul_f64 v[12:13], v[16:17], v[2:3]
	s_delay_alu instid0(VALU_DEP_1) | instskip(SKIP_1) | instid1(VALU_DEP_1)
	v_fma_f64 v[24:25], v[14:15], v[0:1], v[12:13]
	v_mul_f64 v[0:1], v[16:17], v[0:1]
	v_fma_f64 v[26:27], v[14:15], v[2:3], -v[0:1]
	ds_load_b128 v[0:3], v75 offset:23328
	ds_load_b128 v[12:15], v75 offset:27216
	s_waitcnt lgkmcnt(1)
	v_mul_f64 v[16:17], v[194:195], v[2:3]
	s_delay_alu instid0(VALU_DEP_1) | instskip(SKIP_1) | instid1(VALU_DEP_1)
	v_fma_f64 v[28:29], v[192:193], v[0:1], v[16:17]
	v_mul_f64 v[0:1], v[194:195], v[0:1]
	v_fma_f64 v[30:31], v[192:193], v[2:3], -v[0:1]
	ds_load_b128 v[0:3], v75 offset:42768
	ds_load_b128 v[16:19], v75 offset:46656
	s_waitcnt lgkmcnt(1)
	v_mul_f64 v[32:33], v[190:191], v[2:3]
	s_delay_alu instid0(VALU_DEP_1) | instskip(SKIP_1) | instid1(VALU_DEP_1)
	v_fma_f64 v[32:33], v[188:189], v[0:1], v[32:33]
	v_mul_f64 v[0:1], v[190:191], v[0:1]
	v_fma_f64 v[34:35], v[188:189], v[2:3], -v[0:1]
	v_mul_f64 v[0:1], v[202:203], v[14:15]
	s_delay_alu instid0(VALU_DEP_1) | instskip(SKIP_1) | instid1(VALU_DEP_1)
	v_fma_f64 v[36:37], v[200:201], v[12:13], v[0:1]
	v_mul_f64 v[0:1], v[202:203], v[12:13]
	v_fma_f64 v[38:39], v[200:201], v[14:15], -v[0:1]
	s_waitcnt lgkmcnt(0)
	v_mul_f64 v[0:1], v[198:199], v[18:19]
	s_delay_alu instid0(VALU_DEP_1) | instskip(SKIP_1) | instid1(VALU_DEP_1)
	v_fma_f64 v[40:41], v[196:197], v[16:17], v[0:1]
	v_mul_f64 v[0:1], v[198:199], v[16:17]
	v_fma_f64 v[42:43], v[196:197], v[18:19], -v[0:1]
	ds_load_b128 v[0:3], v75 offset:31104
	s_waitcnt lgkmcnt(0)
	v_mul_f64 v[12:13], v[210:211], v[2:3]
	s_delay_alu instid0(VALU_DEP_1) | instskip(SKIP_1) | instid1(VALU_DEP_1)
	v_fma_f64 v[44:45], v[208:209], v[0:1], v[12:13]
	v_mul_f64 v[0:1], v[210:211], v[0:1]
	v_fma_f64 v[46:47], v[208:209], v[2:3], -v[0:1]
	ds_load_b128 v[0:3], v75 offset:50544
	ds_load_b128 v[12:15], v75 offset:54432
	s_waitcnt lgkmcnt(1)
	v_mul_f64 v[16:17], v[206:207], v[2:3]
	s_delay_alu instid0(VALU_DEP_1) | instskip(SKIP_2) | instid1(VALU_DEP_2)
	v_fma_f64 v[48:49], v[204:205], v[0:1], v[16:17]
	v_mul_f64 v[0:1], v[206:207], v[0:1]
	v_add_f64 v[16:17], v[22:23], -v[26:27]
	v_fma_f64 v[50:51], v[204:205], v[2:3], -v[0:1]
	v_mul_f64 v[0:1], v[218:219], v[10:11]
	s_delay_alu instid0(VALU_DEP_1) | instskip(SKIP_1) | instid1(VALU_DEP_1)
	v_fma_f64 v[52:53], v[216:217], v[8:9], v[0:1]
	v_mul_f64 v[0:1], v[218:219], v[8:9]
	v_fma_f64 v[54:55], v[216:217], v[10:11], -v[0:1]
	s_waitcnt lgkmcnt(0)
	v_mul_f64 v[0:1], v[214:215], v[14:15]
	s_delay_alu instid0(VALU_DEP_1) | instskip(SKIP_2) | instid1(VALU_DEP_2)
	v_fma_f64 v[56:57], v[212:213], v[12:13], v[0:1]
	v_mul_f64 v[0:1], v[214:215], v[12:13]
	v_add_f64 v[12:13], v[20:21], v[24:25]
	v_fma_f64 v[58:59], v[212:213], v[14:15], -v[0:1]
	ds_load_b128 v[0:3], v75
	ds_load_b128 v[8:11], v75 offset:3888
	s_waitcnt lgkmcnt(1)
	v_fma_f64 v[14:15], v[12:13], -0.5, v[0:1]
	v_add_f64 v[12:13], v[22:23], v[26:27]
	v_add_f64 v[0:1], v[0:1], v[20:21]
	v_add_f64 v[20:21], v[20:21], -v[24:25]
	s_delay_alu instid0(VALU_DEP_3) | instskip(SKIP_1) | instid1(VALU_DEP_4)
	v_fma_f64 v[18:19], v[12:13], -0.5, v[2:3]
	v_add_f64 v[2:3], v[2:3], v[22:23]
	v_add_f64 v[0:1], v[0:1], v[24:25]
	v_fma_f64 v[12:13], v[16:17], s[8:9], v[14:15]
	v_fma_f64 v[16:17], v[16:17], s[2:3], v[14:15]
	v_fma_f64 v[14:15], v[20:21], s[2:3], v[18:19]
	v_add_f64 v[2:3], v[2:3], v[26:27]
	v_fma_f64 v[18:19], v[20:21], s[8:9], v[18:19]
	ds_load_b128 v[20:23], v75 offset:7776
	ds_load_b128 v[24:27], v75 offset:11664
	s_waitcnt lgkmcnt(0)
	s_barrier
	buffer_gl0_inv
	scratch_load_b32 v60, off, off offset:760 ; 4-byte Folded Reload
	s_waitcnt vmcnt(0)
	ds_store_b128 v60, v[0:3]
	ds_store_b128 v60, v[12:15] offset:720
	ds_store_b128 v60, v[16:19] offset:1440
	v_add_f64 v[0:1], v[28:29], v[32:33]
	v_add_f64 v[16:17], v[28:29], -v[32:33]
	s_delay_alu instid0(VALU_DEP_2) | instskip(SKIP_2) | instid1(VALU_DEP_2)
	v_fma_f64 v[12:13], v[0:1], -0.5, v[8:9]
	v_add_f64 v[0:1], v[30:31], v[34:35]
	v_add_f64 v[8:9], v[8:9], v[28:29]
	v_fma_f64 v[14:15], v[0:1], -0.5, v[10:11]
	v_add_f64 v[0:1], v[10:11], v[30:31]
	v_add_f64 v[10:11], v[30:31], -v[34:35]
	s_delay_alu instid0(VALU_DEP_2) | instskip(SKIP_1) | instid1(VALU_DEP_3)
	v_add_f64 v[2:3], v[0:1], v[34:35]
	v_add_f64 v[0:1], v[8:9], v[32:33]
	v_fma_f64 v[8:9], v[10:11], s[8:9], v[12:13]
	v_fma_f64 v[12:13], v[10:11], s[2:3], v[12:13]
	;; [unrolled: 1-line block ×4, first 2 shown]
	scratch_load_b32 v16, off, off offset:756 ; 4-byte Folded Reload
	s_waitcnt vmcnt(0)
	ds_store_b128 v16, v[0:3]
	ds_store_b128 v16, v[8:11] offset:720
	ds_store_b128 v16, v[12:15] offset:1440
	v_add_f64 v[0:1], v[36:37], v[40:41]
	v_add_f64 v[8:9], v[20:21], v[36:37]
	v_add_f64 v[12:13], v[38:39], -v[42:43]
	v_add_f64 v[16:17], v[36:37], -v[40:41]
	s_delay_alu instid0(VALU_DEP_4) | instskip(SKIP_1) | instid1(VALU_DEP_1)
	v_fma_f64 v[10:11], v[0:1], -0.5, v[20:21]
	v_add_f64 v[0:1], v[38:39], v[42:43]
	v_fma_f64 v[14:15], v[0:1], -0.5, v[22:23]
	v_add_f64 v[0:1], v[22:23], v[38:39]
	s_delay_alu instid0(VALU_DEP_1)
	v_add_f64 v[2:3], v[0:1], v[42:43]
	v_add_f64 v[0:1], v[8:9], v[40:41]
	v_fma_f64 v[8:9], v[12:13], s[8:9], v[10:11]
	v_fma_f64 v[12:13], v[12:13], s[2:3], v[10:11]
	;; [unrolled: 1-line block ×4, first 2 shown]
	scratch_load_b32 v16, off, off offset:752 ; 4-byte Folded Reload
	s_waitcnt vmcnt(0)
	ds_store_b128 v16, v[0:3]
	ds_store_b128 v16, v[8:11] offset:720
	ds_store_b128 v16, v[12:15] offset:1440
	v_add_f64 v[0:1], v[44:45], v[48:49]
	v_add_f64 v[8:9], v[24:25], v[44:45]
	v_add_f64 v[12:13], v[46:47], -v[50:51]
	v_add_f64 v[16:17], v[44:45], -v[48:49]
	s_delay_alu instid0(VALU_DEP_4) | instskip(SKIP_1) | instid1(VALU_DEP_1)
	v_fma_f64 v[10:11], v[0:1], -0.5, v[24:25]
	v_add_f64 v[0:1], v[46:47], v[50:51]
	v_fma_f64 v[14:15], v[0:1], -0.5, v[26:27]
	v_add_f64 v[0:1], v[26:27], v[46:47]
	s_delay_alu instid0(VALU_DEP_1)
	v_add_f64 v[2:3], v[0:1], v[50:51]
	v_add_f64 v[0:1], v[8:9], v[48:49]
	v_fma_f64 v[8:9], v[12:13], s[8:9], v[10:11]
	v_fma_f64 v[12:13], v[12:13], s[2:3], v[10:11]
	;; [unrolled: 1-line block ×4, first 2 shown]
	scratch_load_b32 v16, off, off offset:748 ; 4-byte Folded Reload
	s_waitcnt vmcnt(0)
	ds_store_b128 v16, v[0:3]
	ds_store_b128 v16, v[8:11] offset:720
	ds_store_b128 v16, v[12:15] offset:1440
	v_add_f64 v[0:1], v[52:53], v[56:57]
	v_add_f64 v[12:13], v[52:53], -v[56:57]
	s_delay_alu instid0(VALU_DEP_2) | instskip(SKIP_2) | instid1(VALU_DEP_2)
	v_fma_f64 v[8:9], v[0:1], -0.5, v[4:5]
	v_add_f64 v[0:1], v[54:55], v[58:59]
	v_add_f64 v[4:5], v[4:5], v[52:53]
	v_fma_f64 v[10:11], v[0:1], -0.5, v[6:7]
	v_add_f64 v[0:1], v[6:7], v[54:55]
	v_add_f64 v[6:7], v[54:55], -v[58:59]
	s_delay_alu instid0(VALU_DEP_2) | instskip(SKIP_1) | instid1(VALU_DEP_3)
	v_add_f64 v[2:3], v[0:1], v[58:59]
	v_add_f64 v[0:1], v[4:5], v[56:57]
	v_fma_f64 v[4:5], v[6:7], s[8:9], v[8:9]
	v_fma_f64 v[8:9], v[6:7], s[2:3], v[8:9]
	;; [unrolled: 1-line block ×4, first 2 shown]
	scratch_load_b32 v12, off, off offset:744 ; 4-byte Folded Reload
	s_waitcnt vmcnt(0)
	ds_store_b128 v12, v[0:3]
	ds_store_b128 v12, v[4:7] offset:720
	ds_store_b128 v12, v[8:11] offset:1440
	s_waitcnt lgkmcnt(0)
	s_barrier
	buffer_gl0_inv
	ds_load_b128 v[0:3], v75 offset:19440
	ds_load_b128 v[4:7], v75 offset:15552
	scratch_load_b128 v[10:13], off, off offset:600 ; 16-byte Folded Reload
	s_waitcnt vmcnt(0) lgkmcnt(1)
	v_mul_f64 v[8:9], v[12:13], v[2:3]
	s_delay_alu instid0(VALU_DEP_1) | instskip(SKIP_1) | instid1(VALU_DEP_1)
	v_fma_f64 v[20:21], v[10:11], v[0:1], v[8:9]
	v_mul_f64 v[0:1], v[12:13], v[0:1]
	v_fma_f64 v[22:23], v[10:11], v[2:3], -v[0:1]
	ds_load_b128 v[0:3], v75 offset:38880
	ds_load_b128 v[8:11], v75 offset:34992
	scratch_load_b128 v[14:17], off, off offset:584 ; 16-byte Folded Reload
	s_waitcnt vmcnt(0) lgkmcnt(1)
	v_mul_f64 v[12:13], v[16:17], v[2:3]
	s_delay_alu instid0(VALU_DEP_1) | instskip(SKIP_1) | instid1(VALU_DEP_1)
	v_fma_f64 v[24:25], v[14:15], v[0:1], v[12:13]
	v_mul_f64 v[0:1], v[16:17], v[0:1]
	v_fma_f64 v[26:27], v[14:15], v[2:3], -v[0:1]
	ds_load_b128 v[0:3], v75 offset:23328
	ds_load_b128 v[12:15], v75 offset:27216
	scratch_load_b128 v[30:33], off, off offset:636 ; 16-byte Folded Reload
	s_waitcnt vmcnt(0) lgkmcnt(1)
	v_mul_f64 v[16:17], v[32:33], v[2:3]
	s_delay_alu instid0(VALU_DEP_1) | instskip(SKIP_1) | instid1(VALU_DEP_1)
	v_fma_f64 v[28:29], v[30:31], v[0:1], v[16:17]
	v_mul_f64 v[0:1], v[32:33], v[0:1]
	v_fma_f64 v[30:31], v[30:31], v[2:3], -v[0:1]
	ds_load_b128 v[0:3], v75 offset:42768
	ds_load_b128 v[16:19], v75 offset:46656
	s_clause 0x1
	scratch_load_b128 v[34:37], off, off offset:620
	scratch_load_b128 v[38:41], off, off offset:652
	s_waitcnt vmcnt(1) lgkmcnt(1)
	v_mul_f64 v[32:33], v[36:37], v[2:3]
	s_delay_alu instid0(VALU_DEP_1) | instskip(SKIP_1) | instid1(VALU_DEP_1)
	v_fma_f64 v[32:33], v[34:35], v[0:1], v[32:33]
	v_mul_f64 v[0:1], v[36:37], v[0:1]
	v_fma_f64 v[34:35], v[34:35], v[2:3], -v[0:1]
	s_waitcnt vmcnt(0)
	v_mul_f64 v[0:1], v[40:41], v[14:15]
	s_delay_alu instid0(VALU_DEP_1) | instskip(SKIP_1) | instid1(VALU_DEP_1)
	v_fma_f64 v[36:37], v[38:39], v[12:13], v[0:1]
	v_mul_f64 v[0:1], v[40:41], v[12:13]
	v_fma_f64 v[38:39], v[38:39], v[14:15], -v[0:1]
	scratch_load_b128 v[12:15], off, off offset:668 ; 16-byte Folded Reload
	s_waitcnt vmcnt(0) lgkmcnt(0)
	v_mul_f64 v[0:1], v[14:15], v[18:19]
	s_delay_alu instid0(VALU_DEP_1)
	v_fma_f64 v[40:41], v[12:13], v[16:17], v[0:1]
	v_mul_f64 v[0:1], v[14:15], v[16:17]
	scratch_load_b128 v[14:17], off, off offset:704 ; 16-byte Folded Reload
	v_fma_f64 v[42:43], v[12:13], v[18:19], -v[0:1]
	ds_load_b128 v[0:3], v75 offset:31104
	s_waitcnt vmcnt(0) lgkmcnt(0)
	v_mul_f64 v[12:13], v[16:17], v[2:3]
	s_delay_alu instid0(VALU_DEP_1) | instskip(SKIP_1) | instid1(VALU_DEP_1)
	v_fma_f64 v[44:45], v[14:15], v[0:1], v[12:13]
	v_mul_f64 v[0:1], v[16:17], v[0:1]
	v_fma_f64 v[46:47], v[14:15], v[2:3], -v[0:1]
	ds_load_b128 v[0:3], v75 offset:50544
	ds_load_b128 v[12:15], v75 offset:54432
	scratch_load_b128 v[50:53], off, off offset:688 ; 16-byte Folded Reload
	s_waitcnt vmcnt(0) lgkmcnt(1)
	v_mul_f64 v[16:17], v[52:53], v[2:3]
	s_delay_alu instid0(VALU_DEP_1) | instskip(SKIP_2) | instid1(VALU_DEP_2)
	v_fma_f64 v[48:49], v[50:51], v[0:1], v[16:17]
	v_mul_f64 v[0:1], v[52:53], v[0:1]
	v_add_f64 v[16:17], v[22:23], -v[26:27]
	v_fma_f64 v[50:51], v[50:51], v[2:3], -v[0:1]
	v_mul_f64 v[0:1], v[139:140], v[10:11]
	s_delay_alu instid0(VALU_DEP_1) | instskip(SKIP_1) | instid1(VALU_DEP_1)
	v_fma_f64 v[52:53], v[137:138], v[8:9], v[0:1]
	v_mul_f64 v[0:1], v[139:140], v[8:9]
	v_fma_f64 v[54:55], v[137:138], v[10:11], -v[0:1]
	scratch_load_b128 v[8:11], off, off offset:720 ; 16-byte Folded Reload
	s_waitcnt vmcnt(0) lgkmcnt(0)
	v_mul_f64 v[0:1], v[10:11], v[14:15]
	s_delay_alu instid0(VALU_DEP_1) | instskip(SKIP_2) | instid1(VALU_DEP_2)
	v_fma_f64 v[56:57], v[8:9], v[12:13], v[0:1]
	v_mul_f64 v[0:1], v[10:11], v[12:13]
	v_add_f64 v[12:13], v[20:21], v[24:25]
	v_fma_f64 v[58:59], v[8:9], v[14:15], -v[0:1]
	ds_load_b128 v[0:3], v75
	ds_load_b128 v[8:11], v75 offset:3888
	s_waitcnt lgkmcnt(1)
	v_fma_f64 v[14:15], v[12:13], -0.5, v[0:1]
	v_add_f64 v[12:13], v[22:23], v[26:27]
	v_add_f64 v[0:1], v[0:1], v[20:21]
	v_add_f64 v[20:21], v[20:21], -v[24:25]
	s_delay_alu instid0(VALU_DEP_3) | instskip(SKIP_1) | instid1(VALU_DEP_4)
	v_fma_f64 v[18:19], v[12:13], -0.5, v[2:3]
	v_add_f64 v[2:3], v[2:3], v[22:23]
	v_add_f64 v[0:1], v[0:1], v[24:25]
	v_fma_f64 v[12:13], v[16:17], s[8:9], v[14:15]
	v_fma_f64 v[16:17], v[16:17], s[2:3], v[14:15]
	;; [unrolled: 1-line block ×3, first 2 shown]
	v_add_f64 v[2:3], v[2:3], v[26:27]
	v_fma_f64 v[18:19], v[20:21], s[8:9], v[18:19]
	ds_load_b128 v[20:23], v75 offset:7776
	ds_load_b128 v[24:27], v75 offset:11664
	s_waitcnt lgkmcnt(0)
	s_barrier
	buffer_gl0_inv
	scratch_load_b32 v60, off, off offset:740 ; 4-byte Folded Reload
	s_waitcnt vmcnt(0)
	ds_store_b128 v60, v[0:3]
	ds_store_b128 v60, v[12:15] offset:2160
	ds_store_b128 v60, v[16:19] offset:4320
	v_add_f64 v[0:1], v[28:29], v[32:33]
	v_add_f64 v[16:17], v[28:29], -v[32:33]
	s_delay_alu instid0(VALU_DEP_2) | instskip(SKIP_2) | instid1(VALU_DEP_2)
	v_fma_f64 v[12:13], v[0:1], -0.5, v[8:9]
	v_add_f64 v[0:1], v[30:31], v[34:35]
	v_add_f64 v[8:9], v[8:9], v[28:29]
	v_fma_f64 v[14:15], v[0:1], -0.5, v[10:11]
	v_add_f64 v[0:1], v[10:11], v[30:31]
	v_add_f64 v[10:11], v[30:31], -v[34:35]
	s_delay_alu instid0(VALU_DEP_2) | instskip(SKIP_1) | instid1(VALU_DEP_3)
	v_add_f64 v[2:3], v[0:1], v[34:35]
	v_add_f64 v[0:1], v[8:9], v[32:33]
	v_fma_f64 v[8:9], v[10:11], s[8:9], v[12:13]
	v_fma_f64 v[12:13], v[10:11], s[2:3], v[12:13]
	;; [unrolled: 1-line block ×4, first 2 shown]
	scratch_load_b32 v16, off, off offset:736 ; 4-byte Folded Reload
	s_waitcnt vmcnt(0)
	ds_store_b128 v16, v[0:3]
	ds_store_b128 v16, v[8:11] offset:2160
	ds_store_b128 v16, v[12:15] offset:4320
	v_add_f64 v[0:1], v[36:37], v[40:41]
	v_add_f64 v[8:9], v[20:21], v[36:37]
	v_add_f64 v[12:13], v[38:39], -v[42:43]
	v_add_f64 v[16:17], v[36:37], -v[40:41]
	s_delay_alu instid0(VALU_DEP_4) | instskip(SKIP_1) | instid1(VALU_DEP_1)
	v_fma_f64 v[10:11], v[0:1], -0.5, v[20:21]
	v_add_f64 v[0:1], v[38:39], v[42:43]
	v_fma_f64 v[14:15], v[0:1], -0.5, v[22:23]
	v_add_f64 v[0:1], v[22:23], v[38:39]
	s_delay_alu instid0(VALU_DEP_1)
	v_add_f64 v[2:3], v[0:1], v[42:43]
	v_add_f64 v[0:1], v[8:9], v[40:41]
	v_fma_f64 v[8:9], v[12:13], s[8:9], v[10:11]
	v_fma_f64 v[12:13], v[12:13], s[2:3], v[10:11]
	;; [unrolled: 1-line block ×4, first 2 shown]
	scratch_load_b32 v16, off, off offset:684 ; 4-byte Folded Reload
	s_waitcnt vmcnt(0)
	ds_store_b128 v16, v[0:3]
	ds_store_b128 v16, v[8:11] offset:2160
	ds_store_b128 v16, v[12:15] offset:4320
	v_add_f64 v[0:1], v[44:45], v[48:49]
	v_add_f64 v[8:9], v[24:25], v[44:45]
	v_add_f64 v[12:13], v[46:47], -v[50:51]
	v_add_f64 v[16:17], v[44:45], -v[48:49]
	s_delay_alu instid0(VALU_DEP_4) | instskip(SKIP_1) | instid1(VALU_DEP_1)
	v_fma_f64 v[10:11], v[0:1], -0.5, v[24:25]
	v_add_f64 v[0:1], v[46:47], v[50:51]
	v_fma_f64 v[14:15], v[0:1], -0.5, v[26:27]
	v_add_f64 v[0:1], v[26:27], v[46:47]
	s_delay_alu instid0(VALU_DEP_1)
	v_add_f64 v[2:3], v[0:1], v[50:51]
	v_add_f64 v[0:1], v[8:9], v[48:49]
	v_fma_f64 v[8:9], v[12:13], s[8:9], v[10:11]
	v_fma_f64 v[12:13], v[12:13], s[2:3], v[10:11]
	;; [unrolled: 1-line block ×4, first 2 shown]
	scratch_load_b32 v16, off, off offset:616 ; 4-byte Folded Reload
	s_waitcnt vmcnt(0)
	ds_store_b128 v16, v[0:3]
	ds_store_b128 v16, v[8:11] offset:2160
	ds_store_b128 v16, v[12:15] offset:4320
	v_add_f64 v[0:1], v[52:53], v[56:57]
	v_add_f64 v[12:13], v[52:53], -v[56:57]
	s_delay_alu instid0(VALU_DEP_2) | instskip(SKIP_2) | instid1(VALU_DEP_2)
	v_fma_f64 v[8:9], v[0:1], -0.5, v[4:5]
	v_add_f64 v[0:1], v[54:55], v[58:59]
	v_add_f64 v[4:5], v[4:5], v[52:53]
	v_fma_f64 v[10:11], v[0:1], -0.5, v[6:7]
	v_add_f64 v[0:1], v[6:7], v[54:55]
	v_add_f64 v[6:7], v[54:55], -v[58:59]
	s_delay_alu instid0(VALU_DEP_2) | instskip(SKIP_1) | instid1(VALU_DEP_3)
	v_add_f64 v[2:3], v[0:1], v[58:59]
	v_add_f64 v[0:1], v[4:5], v[56:57]
	v_fma_f64 v[4:5], v[6:7], s[8:9], v[8:9]
	v_fma_f64 v[8:9], v[6:7], s[2:3], v[8:9]
	;; [unrolled: 1-line block ×4, first 2 shown]
	scratch_load_b32 v12, off, off offset:576 ; 4-byte Folded Reload
	s_waitcnt vmcnt(0)
	ds_store_b128 v12, v[0:3]
	ds_store_b128 v12, v[4:7] offset:2160
	ds_store_b128 v12, v[8:11] offset:4320
	s_waitcnt lgkmcnt(0)
	s_barrier
	buffer_gl0_inv
	ds_load_b128 v[0:3], v75 offset:19440
	ds_load_b128 v[4:7], v75 offset:15552
	scratch_load_b128 v[10:13], off, off offset:428 ; 16-byte Folded Reload
	s_waitcnt vmcnt(0) lgkmcnt(1)
	v_mul_f64 v[8:9], v[12:13], v[2:3]
	s_delay_alu instid0(VALU_DEP_1) | instskip(SKIP_1) | instid1(VALU_DEP_1)
	v_fma_f64 v[20:21], v[10:11], v[0:1], v[8:9]
	v_mul_f64 v[0:1], v[12:13], v[0:1]
	v_fma_f64 v[22:23], v[10:11], v[2:3], -v[0:1]
	ds_load_b128 v[0:3], v75 offset:38880
	ds_load_b128 v[8:11], v75 offset:34992
	scratch_load_b128 v[14:17], off, off offset:412 ; 16-byte Folded Reload
	s_waitcnt vmcnt(0) lgkmcnt(1)
	v_mul_f64 v[12:13], v[16:17], v[2:3]
	s_delay_alu instid0(VALU_DEP_1) | instskip(SKIP_1) | instid1(VALU_DEP_1)
	v_fma_f64 v[24:25], v[14:15], v[0:1], v[12:13]
	v_mul_f64 v[0:1], v[16:17], v[0:1]
	v_fma_f64 v[26:27], v[14:15], v[2:3], -v[0:1]
	;; [unrolled: 9-line block ×3, first 2 shown]
	ds_load_b128 v[0:3], v75 offset:42768
	ds_load_b128 v[16:19], v75 offset:46656
	s_clause 0x1
	scratch_load_b128 v[34:37], off, off offset:444
	scratch_load_b128 v[38:41], off, off offset:476
	s_waitcnt vmcnt(1) lgkmcnt(1)
	v_mul_f64 v[32:33], v[36:37], v[2:3]
	s_delay_alu instid0(VALU_DEP_1) | instskip(SKIP_1) | instid1(VALU_DEP_1)
	v_fma_f64 v[32:33], v[34:35], v[0:1], v[32:33]
	v_mul_f64 v[0:1], v[36:37], v[0:1]
	v_fma_f64 v[34:35], v[34:35], v[2:3], -v[0:1]
	s_waitcnt vmcnt(0)
	v_mul_f64 v[0:1], v[40:41], v[14:15]
	s_delay_alu instid0(VALU_DEP_1) | instskip(SKIP_1) | instid1(VALU_DEP_1)
	v_fma_f64 v[36:37], v[38:39], v[12:13], v[0:1]
	v_mul_f64 v[0:1], v[40:41], v[12:13]
	v_fma_f64 v[38:39], v[38:39], v[14:15], -v[0:1]
	scratch_load_b128 v[12:15], off, off offset:492 ; 16-byte Folded Reload
	s_waitcnt vmcnt(0) lgkmcnt(0)
	v_mul_f64 v[0:1], v[14:15], v[18:19]
	s_delay_alu instid0(VALU_DEP_1)
	v_fma_f64 v[40:41], v[12:13], v[16:17], v[0:1]
	v_mul_f64 v[0:1], v[14:15], v[16:17]
	scratch_load_b128 v[14:17], off, off offset:524 ; 16-byte Folded Reload
	v_fma_f64 v[42:43], v[12:13], v[18:19], -v[0:1]
	ds_load_b128 v[0:3], v75 offset:31104
	s_waitcnt vmcnt(0) lgkmcnt(0)
	v_mul_f64 v[12:13], v[16:17], v[2:3]
	s_delay_alu instid0(VALU_DEP_1) | instskip(SKIP_1) | instid1(VALU_DEP_1)
	v_fma_f64 v[44:45], v[14:15], v[0:1], v[12:13]
	v_mul_f64 v[0:1], v[16:17], v[0:1]
	v_fma_f64 v[46:47], v[14:15], v[2:3], -v[0:1]
	ds_load_b128 v[0:3], v75 offset:50544
	ds_load_b128 v[12:15], v75 offset:54432
	scratch_load_b128 v[50:53], off, off offset:508 ; 16-byte Folded Reload
	s_waitcnt vmcnt(0) lgkmcnt(1)
	v_mul_f64 v[16:17], v[52:53], v[2:3]
	s_delay_alu instid0(VALU_DEP_1) | instskip(SKIP_2) | instid1(VALU_DEP_1)
	v_fma_f64 v[48:49], v[50:51], v[0:1], v[16:17]
	scratch_load_b128 v[16:19], off, off offset:540 ; 16-byte Folded Reload
	v_mul_f64 v[0:1], v[52:53], v[0:1]
	v_fma_f64 v[50:51], v[50:51], v[2:3], -v[0:1]
	s_waitcnt vmcnt(0)
	v_mul_f64 v[0:1], v[18:19], v[10:11]
	s_delay_alu instid0(VALU_DEP_1) | instskip(SKIP_1) | instid1(VALU_DEP_1)
	v_fma_f64 v[52:53], v[16:17], v[8:9], v[0:1]
	v_mul_f64 v[0:1], v[18:19], v[8:9]
	v_fma_f64 v[54:55], v[16:17], v[10:11], -v[0:1]
	scratch_load_b128 v[8:11], off, off offset:560 ; 16-byte Folded Reload
	v_add_f64 v[16:17], v[22:23], -v[26:27]
	s_waitcnt vmcnt(0) lgkmcnt(0)
	v_mul_f64 v[0:1], v[10:11], v[14:15]
	s_delay_alu instid0(VALU_DEP_1) | instskip(SKIP_2) | instid1(VALU_DEP_2)
	v_fma_f64 v[56:57], v[8:9], v[12:13], v[0:1]
	v_mul_f64 v[0:1], v[10:11], v[12:13]
	v_add_f64 v[12:13], v[20:21], v[24:25]
	v_fma_f64 v[58:59], v[8:9], v[14:15], -v[0:1]
	ds_load_b128 v[0:3], v75
	ds_load_b128 v[8:11], v75 offset:3888
	s_waitcnt lgkmcnt(1)
	v_fma_f64 v[14:15], v[12:13], -0.5, v[0:1]
	v_add_f64 v[12:13], v[22:23], v[26:27]
	v_add_f64 v[0:1], v[0:1], v[20:21]
	v_add_f64 v[20:21], v[20:21], -v[24:25]
	s_delay_alu instid0(VALU_DEP_3)
	v_fma_f64 v[18:19], v[12:13], -0.5, v[2:3]
	v_fma_f64 v[12:13], v[16:17], s[8:9], v[14:15]
	v_fma_f64 v[16:17], v[16:17], s[2:3], v[14:15]
	v_add_f64 v[2:3], v[2:3], v[22:23]
	v_add_f64 v[0:1], v[0:1], v[24:25]
	v_add_f64 v[24:25], v[30:31], -v[34:35]
	v_fma_f64 v[14:15], v[20:21], s[2:3], v[18:19]
	v_fma_f64 v[18:19], v[20:21], s[8:9], v[18:19]
	v_add_f64 v[20:21], v[28:29], v[32:33]
	v_add_f64 v[2:3], v[2:3], v[26:27]
	s_waitcnt lgkmcnt(0)
	s_delay_alu instid0(VALU_DEP_2) | instskip(SKIP_3) | instid1(VALU_DEP_3)
	v_fma_f64 v[22:23], v[20:21], -0.5, v[8:9]
	v_add_f64 v[20:21], v[30:31], v[34:35]
	v_add_f64 v[8:9], v[8:9], v[28:29]
	v_add_f64 v[28:29], v[28:29], -v[32:33]
	v_fma_f64 v[26:27], v[20:21], -0.5, v[10:11]
	v_add_f64 v[10:11], v[10:11], v[30:31]
	s_delay_alu instid0(VALU_DEP_4)
	v_add_f64 v[8:9], v[8:9], v[32:33]
	v_fma_f64 v[20:21], v[24:25], s[8:9], v[22:23]
	v_fma_f64 v[24:25], v[24:25], s[2:3], v[22:23]
	;; [unrolled: 1-line block ×3, first 2 shown]
	v_add_f64 v[10:11], v[10:11], v[34:35]
	v_fma_f64 v[26:27], v[28:29], s[8:9], v[26:27]
	ds_load_b128 v[28:31], v75 offset:7776
	ds_load_b128 v[32:35], v75 offset:11664
	s_waitcnt lgkmcnt(0)
	s_barrier
	buffer_gl0_inv
	ds_store_b128 v75, v[0:3]
	ds_store_b128 v75, v[12:15] offset:6480
	ds_store_b128 v75, v[16:19] offset:12960
	ds_store_b128 v108, v[8:11]
	ds_store_b128 v108, v[20:23] offset:6480
	ds_store_b128 v108, v[24:27] offset:12960
	v_add_f64 v[0:1], v[36:37], v[40:41]
	v_add_f64 v[8:9], v[28:29], v[36:37]
	v_add_f64 v[12:13], v[38:39], -v[42:43]
	v_add_f64 v[16:17], v[36:37], -v[40:41]
	v_add_f64 v[20:21], v[32:33], v[44:45]
	v_add_f64 v[24:25], v[46:47], -v[50:51]
	v_fma_f64 v[10:11], v[0:1], -0.5, v[28:29]
	v_add_f64 v[0:1], v[38:39], v[42:43]
	v_add_f64 v[28:29], v[44:45], -v[48:49]
	s_delay_alu instid0(VALU_DEP_2) | instskip(SKIP_1) | instid1(VALU_DEP_1)
	v_fma_f64 v[14:15], v[0:1], -0.5, v[30:31]
	v_add_f64 v[0:1], v[30:31], v[38:39]
	v_add_f64 v[2:3], v[0:1], v[42:43]
	;; [unrolled: 1-line block ×3, first 2 shown]
	v_fma_f64 v[8:9], v[12:13], s[8:9], v[10:11]
	v_fma_f64 v[12:13], v[12:13], s[2:3], v[10:11]
	;; [unrolled: 1-line block ×4, first 2 shown]
	ds_store_b128 v75, v[8:11] offset:27216
	ds_store_b128 v75, v[0:3] offset:20736
	;; [unrolled: 1-line block ×3, first 2 shown]
	scratch_load_b32 v108, off, off offset:580 ; 4-byte Folded Reload
	v_add_f64 v[16:17], v[44:45], v[48:49]
	v_add_f64 v[0:1], v[52:53], v[56:57]
	v_add_f64 v[12:13], v[52:53], -v[56:57]
	s_delay_alu instid0(VALU_DEP_3) | instskip(SKIP_1) | instid1(VALU_DEP_4)
	v_fma_f64 v[22:23], v[16:17], -0.5, v[32:33]
	v_add_f64 v[16:17], v[46:47], v[50:51]
	v_fma_f64 v[8:9], v[0:1], -0.5, v[4:5]
	v_add_f64 v[0:1], v[54:55], v[58:59]
	v_add_f64 v[4:5], v[4:5], v[52:53]
	s_delay_alu instid0(VALU_DEP_4) | instskip(SKIP_1) | instid1(VALU_DEP_4)
	v_fma_f64 v[26:27], v[16:17], -0.5, v[34:35]
	v_add_f64 v[16:17], v[34:35], v[46:47]
	v_fma_f64 v[10:11], v[0:1], -0.5, v[6:7]
	v_add_f64 v[0:1], v[6:7], v[54:55]
	v_add_f64 v[6:7], v[54:55], -v[58:59]
	s_delay_alu instid0(VALU_DEP_4) | instskip(SKIP_1) | instid1(VALU_DEP_4)
	v_add_f64 v[18:19], v[16:17], v[50:51]
	v_add_f64 v[16:17], v[20:21], v[48:49]
	;; [unrolled: 1-line block ×4, first 2 shown]
	v_fma_f64 v[20:21], v[24:25], s[8:9], v[22:23]
	v_fma_f64 v[24:25], v[24:25], s[2:3], v[22:23]
	;; [unrolled: 1-line block ×8, first 2 shown]
	s_waitcnt vmcnt(0)
	ds_store_b128 v108, v[16:19]
	ds_store_b128 v108, v[20:23] offset:6480
	ds_store_b128 v108, v[24:27] offset:12960
	;; [unrolled: 1-line block ×5, first 2 shown]
	s_waitcnt lgkmcnt(0)
	s_barrier
	buffer_gl0_inv
	ds_load_b128 v[1:4], v75 offset:19440
	ds_load_b128 v[5:8], v75 offset:15552
	scratch_load_b128 v[11:14], off, off offset:268 ; 16-byte Folded Reload
	s_waitcnt vmcnt(0) lgkmcnt(1)
	v_mul_f64 v[9:10], v[13:14], v[3:4]
	s_delay_alu instid0(VALU_DEP_1) | instskip(SKIP_1) | instid1(VALU_DEP_1)
	v_fma_f64 v[21:22], v[11:12], v[1:2], v[9:10]
	v_mul_f64 v[0:1], v[13:14], v[1:2]
	v_fma_f64 v[23:24], v[11:12], v[3:4], -v[0:1]
	ds_load_b128 v[0:3], v75 offset:38880
	ds_load_b128 v[9:12], v75 offset:34992
	scratch_load_b128 v[15:18], off, off offset:252 ; 16-byte Folded Reload
	s_waitcnt vmcnt(0) lgkmcnt(1)
	v_mul_f64 v[13:14], v[17:18], v[2:3]
	s_delay_alu instid0(VALU_DEP_1) | instskip(SKIP_1) | instid1(VALU_DEP_1)
	v_fma_f64 v[25:26], v[15:16], v[0:1], v[13:14]
	v_mul_f64 v[0:1], v[17:18], v[0:1]
	v_fma_f64 v[27:28], v[15:16], v[2:3], -v[0:1]
	;; [unrolled: 9-line block ×3, first 2 shown]
	ds_load_b128 v[0:3], v75 offset:42768
	ds_load_b128 v[17:20], v75 offset:46656
	s_clause 0x1
	scratch_load_b128 v[35:38], off, off offset:284
	scratch_load_b128 v[39:42], off, off offset:316
	s_waitcnt vmcnt(1) lgkmcnt(1)
	v_mul_f64 v[33:34], v[37:38], v[2:3]
	s_delay_alu instid0(VALU_DEP_1) | instskip(SKIP_1) | instid1(VALU_DEP_1)
	v_fma_f64 v[33:34], v[35:36], v[0:1], v[33:34]
	v_mul_f64 v[0:1], v[37:38], v[0:1]
	v_fma_f64 v[35:36], v[35:36], v[2:3], -v[0:1]
	s_waitcnt vmcnt(0)
	v_mul_f64 v[0:1], v[41:42], v[15:16]
	s_delay_alu instid0(VALU_DEP_1) | instskip(SKIP_1) | instid1(VALU_DEP_1)
	v_fma_f64 v[37:38], v[39:40], v[13:14], v[0:1]
	v_mul_f64 v[0:1], v[41:42], v[13:14]
	v_fma_f64 v[39:40], v[39:40], v[15:16], -v[0:1]
	scratch_load_b128 v[13:16], off, off offset:332 ; 16-byte Folded Reload
	s_waitcnt vmcnt(0) lgkmcnt(0)
	v_mul_f64 v[0:1], v[15:16], v[19:20]
	s_delay_alu instid0(VALU_DEP_1)
	v_fma_f64 v[41:42], v[13:14], v[17:18], v[0:1]
	v_mul_f64 v[0:1], v[15:16], v[17:18]
	scratch_load_b128 v[15:18], off, off offset:364 ; 16-byte Folded Reload
	v_add_f64 v[61:62], v[37:38], v[41:42]
	v_fma_f64 v[43:44], v[13:14], v[19:20], -v[0:1]
	ds_load_b128 v[0:3], v75 offset:31104
	v_add_f64 v[63:64], v[39:40], v[43:44]
	s_waitcnt vmcnt(0) lgkmcnt(0)
	v_mul_f64 v[13:14], v[17:18], v[2:3]
	s_delay_alu instid0(VALU_DEP_1) | instskip(SKIP_1) | instid1(VALU_DEP_1)
	v_fma_f64 v[45:46], v[15:16], v[0:1], v[13:14]
	v_mul_f64 v[0:1], v[17:18], v[0:1]
	v_fma_f64 v[47:48], v[15:16], v[2:3], -v[0:1]
	ds_load_b128 v[0:3], v75 offset:50544
	ds_load_b128 v[13:16], v75 offset:54432
	scratch_load_b128 v[51:54], off, off offset:348 ; 16-byte Folded Reload
	s_waitcnt vmcnt(0) lgkmcnt(1)
	v_mul_f64 v[17:18], v[53:54], v[2:3]
	s_delay_alu instid0(VALU_DEP_1) | instskip(SKIP_2) | instid1(VALU_DEP_1)
	v_fma_f64 v[49:50], v[51:52], v[0:1], v[17:18]
	scratch_load_b128 v[17:20], off, off offset:396 ; 16-byte Folded Reload
	v_mul_f64 v[0:1], v[53:54], v[0:1]
	v_fma_f64 v[51:52], v[51:52], v[2:3], -v[0:1]
	s_waitcnt vmcnt(0)
	v_mul_f64 v[0:1], v[19:20], v[11:12]
	s_delay_alu instid0(VALU_DEP_1) | instskip(SKIP_1) | instid1(VALU_DEP_1)
	v_fma_f64 v[53:54], v[17:18], v[9:10], v[0:1]
	v_mul_f64 v[0:1], v[19:20], v[9:10]
	v_fma_f64 v[55:56], v[17:18], v[11:12], -v[0:1]
	scratch_load_b128 v[9:12], off, off offset:380 ; 16-byte Folded Reload
	v_add_f64 v[17:18], v[23:24], -v[27:28]
	s_waitcnt vmcnt(0) lgkmcnt(0)
	v_mul_f64 v[0:1], v[11:12], v[15:16]
	s_delay_alu instid0(VALU_DEP_1) | instskip(SKIP_2) | instid1(VALU_DEP_2)
	v_fma_f64 v[57:58], v[9:10], v[13:14], v[0:1]
	v_mul_f64 v[0:1], v[11:12], v[13:14]
	v_add_f64 v[13:14], v[21:22], v[25:26]
	v_fma_f64 v[59:60], v[9:10], v[15:16], -v[0:1]
	ds_load_b128 v[0:3], v75
	ds_load_b128 v[9:12], v75 offset:3888
	s_waitcnt lgkmcnt(1)
	v_fma_f64 v[15:16], v[13:14], -0.5, v[0:1]
	v_add_f64 v[13:14], v[23:24], v[27:28]
	v_add_f64 v[0:1], v[0:1], v[21:22]
	v_add_f64 v[21:22], v[21:22], -v[25:26]
	v_add_f64 v[65:66], v[55:56], -v[59:60]
	s_delay_alu instid0(VALU_DEP_4)
	v_fma_f64 v[19:20], v[13:14], -0.5, v[2:3]
	v_fma_f64 v[13:14], v[17:18], s[8:9], v[15:16]
	v_fma_f64 v[17:18], v[17:18], s[2:3], v[15:16]
	v_add_f64 v[2:3], v[2:3], v[23:24]
	v_add_f64 v[0:1], v[0:1], v[25:26]
	v_add_f64 v[25:26], v[31:32], -v[35:36]
	v_fma_f64 v[15:16], v[21:22], s[2:3], v[19:20]
	v_fma_f64 v[19:20], v[21:22], s[8:9], v[19:20]
	v_add_f64 v[21:22], v[29:30], v[33:34]
	v_add_f64 v[2:3], v[2:3], v[27:28]
	s_waitcnt lgkmcnt(0)
	s_delay_alu instid0(VALU_DEP_2) | instskip(SKIP_3) | instid1(VALU_DEP_3)
	v_fma_f64 v[23:24], v[21:22], -0.5, v[9:10]
	v_add_f64 v[21:22], v[31:32], v[35:36]
	v_add_f64 v[9:10], v[9:10], v[29:30]
	v_add_f64 v[29:30], v[29:30], -v[33:34]
	v_fma_f64 v[27:28], v[21:22], -0.5, v[11:12]
	v_add_f64 v[11:12], v[11:12], v[31:32]
	s_delay_alu instid0(VALU_DEP_4)
	v_add_f64 v[9:10], v[9:10], v[33:34]
	v_fma_f64 v[21:22], v[25:26], s[8:9], v[23:24]
	v_fma_f64 v[25:26], v[25:26], s[2:3], v[23:24]
	;; [unrolled: 1-line block ×3, first 2 shown]
	v_add_f64 v[11:12], v[11:12], v[35:36]
	v_fma_f64 v[27:28], v[29:30], s[8:9], v[27:28]
	ds_load_b128 v[29:32], v75 offset:7776
	ds_load_b128 v[33:36], v75 offset:11664
	s_waitcnt lgkmcnt(1)
	v_fma_f64 v[63:64], v[63:64], -0.5, v[31:32]
	v_add_f64 v[31:32], v[31:32], v[39:40]
	v_fma_f64 v[61:62], v[61:62], -0.5, v[29:30]
	v_add_f64 v[29:30], v[29:30], v[37:38]
	v_add_f64 v[39:40], v[39:40], -v[43:44]
	s_delay_alu instid0(VALU_DEP_4) | instskip(SKIP_1) | instid1(VALU_DEP_4)
	v_add_f64 v[31:32], v[31:32], v[43:44]
	v_add_f64 v[43:44], v[37:38], -v[41:42]
	v_add_f64 v[29:30], v[29:30], v[41:42]
	s_delay_alu instid0(VALU_DEP_4)
	v_fma_f64 v[37:38], v[39:40], s[8:9], v[61:62]
	v_fma_f64 v[41:42], v[39:40], s[2:3], v[61:62]
	v_add_f64 v[61:62], v[45:46], v[49:50]
	v_fma_f64 v[39:40], v[43:44], s[2:3], v[63:64]
	v_fma_f64 v[43:44], v[43:44], s[8:9], v[63:64]
	v_add_f64 v[63:64], v[47:48], v[51:52]
	s_waitcnt lgkmcnt(0)
	s_delay_alu instid0(VALU_DEP_4) | instskip(SKIP_1) | instid1(VALU_DEP_3)
	v_fma_f64 v[61:62], v[61:62], -0.5, v[33:34]
	v_add_f64 v[33:34], v[33:34], v[45:46]
	v_fma_f64 v[63:64], v[63:64], -0.5, v[35:36]
	v_add_f64 v[35:36], v[35:36], v[47:48]
	v_add_f64 v[47:48], v[47:48], -v[51:52]
	s_delay_alu instid0(VALU_DEP_4) | instskip(NEXT) | instid1(VALU_DEP_3)
	v_add_f64 v[33:34], v[33:34], v[49:50]
	v_add_f64 v[35:36], v[35:36], v[51:52]
	v_add_f64 v[51:52], v[45:46], -v[49:50]
	s_delay_alu instid0(VALU_DEP_4) | instskip(SKIP_2) | instid1(VALU_DEP_4)
	v_fma_f64 v[45:46], v[47:48], s[8:9], v[61:62]
	v_fma_f64 v[49:50], v[47:48], s[2:3], v[61:62]
	v_add_f64 v[61:62], v[53:54], v[57:58]
	v_fma_f64 v[47:48], v[51:52], s[2:3], v[63:64]
	v_fma_f64 v[51:52], v[51:52], s[8:9], v[63:64]
	v_add_f64 v[63:64], v[55:56], v[59:60]
	s_delay_alu instid0(VALU_DEP_4) | instskip(SKIP_1) | instid1(VALU_DEP_3)
	v_fma_f64 v[61:62], v[61:62], -0.5, v[5:6]
	v_add_f64 v[4:5], v[5:6], v[53:54]
	v_fma_f64 v[63:64], v[63:64], -0.5, v[7:8]
	v_add_f64 v[7:8], v[7:8], v[55:56]
	s_delay_alu instid0(VALU_DEP_3) | instskip(NEXT) | instid1(VALU_DEP_2)
	v_add_f64 v[4:5], v[4:5], v[57:58]
	v_add_f64 v[6:7], v[7:8], v[59:60]
	v_add_f64 v[59:60], v[53:54], -v[57:58]
	v_fma_f64 v[53:54], v[65:66], s[8:9], v[61:62]
	v_fma_f64 v[57:58], v[65:66], s[2:3], v[61:62]
	s_delay_alu instid0(VALU_DEP_3)
	v_fma_f64 v[55:56], v[59:60], s[2:3], v[63:64]
	v_fma_f64 v[59:60], v[59:60], s[8:9], v[63:64]
	ds_store_b128 v75, v[0:3]
	ds_store_b128 v75, v[9:12] offset:3888
	ds_store_b128 v75, v[29:32] offset:7776
	;; [unrolled: 1-line block ×14, first 2 shown]
	s_waitcnt lgkmcnt(0)
	s_barrier
	buffer_gl0_inv
	ds_load_b128 v[0:3], v75
	ds_load_b128 v[4:7], v75 offset:3888
	scratch_load_b128 v[10:13], off, off offset:200 ; 16-byte Folded Reload
	s_mov_b32 s2, 0x8098d3d3
	s_mov_b32 s3, 0x3f31facd
	s_mul_i32 s8, s4, 0x2d90
	s_waitcnt vmcnt(0) lgkmcnt(1)
	v_mul_f64 v[8:9], v[12:13], v[2:3]
	s_delay_alu instid0(VALU_DEP_1) | instskip(SKIP_1) | instid1(VALU_DEP_1)
	v_fma_f64 v[24:25], v[10:11], v[0:1], v[8:9]
	v_mul_f64 v[0:1], v[12:13], v[0:1]
	v_fma_f64 v[26:27], v[10:11], v[2:3], -v[0:1]
	ds_load_b128 v[0:3], v75 offset:11664
	ds_load_b128 v[8:11], v75 offset:7776
	scratch_load_b128 v[14:17], off, off offset:120 ; 16-byte Folded Reload
	s_waitcnt vmcnt(0) lgkmcnt(1)
	v_mul_f64 v[12:13], v[16:17], v[2:3]
	s_delay_alu instid0(VALU_DEP_1) | instskip(SKIP_1) | instid1(VALU_DEP_1)
	v_fma_f64 v[28:29], v[14:15], v[0:1], v[12:13]
	v_mul_f64 v[0:1], v[16:17], v[0:1]
	v_fma_f64 v[30:31], v[14:15], v[2:3], -v[0:1]
	ds_load_b128 v[0:3], v75 offset:23328
	ds_load_b128 v[12:15], v75 offset:27216
	scratch_load_b128 v[18:21], off, off offset:88 ; 16-byte Folded Reload
	;; [unrolled: 9-line block ×3, first 2 shown]
	s_waitcnt vmcnt(0) lgkmcnt(1)
	v_mul_f64 v[20:21], v[40:41], v[2:3]
	s_delay_alu instid0(VALU_DEP_1) | instskip(SKIP_1) | instid1(VALU_DEP_1)
	v_fma_f64 v[36:37], v[38:39], v[0:1], v[20:21]
	v_mul_f64 v[0:1], v[40:41], v[0:1]
	v_fma_f64 v[38:39], v[38:39], v[2:3], -v[0:1]
	ds_load_b128 v[0:3], v75 offset:46656
	ds_load_b128 v[20:23], v75 offset:42768
	s_clause 0x1
	scratch_load_b128 v[42:45], off, off offset:8
	scratch_load_b128 v[46:49], off, off offset:40
	s_waitcnt vmcnt(1) lgkmcnt(1)
	v_mul_f64 v[40:41], v[44:45], v[2:3]
	s_delay_alu instid0(VALU_DEP_1) | instskip(SKIP_1) | instid1(VALU_DEP_1)
	v_fma_f64 v[40:41], v[42:43], v[0:1], v[40:41]
	v_mul_f64 v[0:1], v[44:45], v[0:1]
	v_fma_f64 v[42:43], v[42:43], v[2:3], -v[0:1]
	s_waitcnt vmcnt(0)
	v_mul_f64 v[0:1], v[48:49], v[6:7]
	s_delay_alu instid0(VALU_DEP_1) | instskip(SKIP_1) | instid1(VALU_DEP_1)
	v_fma_f64 v[44:45], v[46:47], v[4:5], v[0:1]
	v_mul_f64 v[0:1], v[48:49], v[4:5]
	v_fma_f64 v[46:47], v[46:47], v[6:7], -v[0:1]
	ds_load_b128 v[0:3], v75 offset:15552
	ds_load_b128 v[4:7], v75 offset:19440
	s_clause 0x1
	scratch_load_b128 v[50:53], off, off offset:24
	scratch_load_b128 v[54:57], off, off offset:56
	s_waitcnt vmcnt(1) lgkmcnt(1)
	v_mul_f64 v[48:49], v[52:53], v[2:3]
	s_delay_alu instid0(VALU_DEP_1) | instskip(SKIP_1) | instid1(VALU_DEP_1)
	v_fma_f64 v[48:49], v[50:51], v[0:1], v[48:49]
	v_mul_f64 v[0:1], v[52:53], v[0:1]
	v_fma_f64 v[50:51], v[50:51], v[2:3], -v[0:1]
	s_waitcnt vmcnt(0)
	v_mul_f64 v[0:1], v[56:57], v[14:15]
	s_delay_alu instid0(VALU_DEP_1) | instskip(SKIP_1) | instid1(VALU_DEP_1)
	v_fma_f64 v[52:53], v[54:55], v[12:13], v[0:1]
	v_mul_f64 v[0:1], v[56:57], v[12:13]
	v_fma_f64 v[54:55], v[54:55], v[14:15], -v[0:1]
	scratch_load_b128 v[12:15], off, off offset:104 ; 16-byte Folded Reload
	s_waitcnt vmcnt(0)
	v_mul_f64 v[0:1], v[14:15], v[18:19]
	s_delay_alu instid0(VALU_DEP_1) | instskip(SKIP_1) | instid1(VALU_DEP_1)
	v_fma_f64 v[56:57], v[12:13], v[16:17], v[0:1]
	v_mul_f64 v[0:1], v[14:15], v[16:17]
	v_fma_f64 v[58:59], v[12:13], v[18:19], -v[0:1]
	ds_load_b128 v[0:3], v75 offset:50544
	ds_load_b128 v[12:15], v75 offset:54432
	scratch_load_b128 v[62:65], off, off offset:136 ; 16-byte Folded Reload
	s_waitcnt vmcnt(0) lgkmcnt(1)
	v_mul_f64 v[16:17], v[64:65], v[2:3]
	s_delay_alu instid0(VALU_DEP_1) | instskip(SKIP_2) | instid1(VALU_DEP_1)
	v_fma_f64 v[60:61], v[62:63], v[0:1], v[16:17]
	scratch_load_b128 v[16:19], off, off offset:152 ; 16-byte Folded Reload
	v_mul_f64 v[0:1], v[64:65], v[0:1]
	v_fma_f64 v[62:63], v[62:63], v[2:3], -v[0:1]
	s_waitcnt vmcnt(0)
	v_mul_f64 v[0:1], v[18:19], v[10:11]
	s_delay_alu instid0(VALU_DEP_1) | instskip(SKIP_2) | instid1(VALU_DEP_2)
	v_fma_f64 v[64:65], v[16:17], v[8:9], v[0:1]
	v_mul_f64 v[0:1], v[18:19], v[8:9]
	v_mul_f64 v[18:19], v[54:55], s[2:3]
	v_fma_f64 v[66:67], v[16:17], v[10:11], -v[0:1]
	scratch_load_b128 v[8:11], off, off offset:168 ; 16-byte Folded Reload
	s_waitcnt vmcnt(0)
	v_mul_f64 v[0:1], v[10:11], v[6:7]
	s_delay_alu instid0(VALU_DEP_1)
	v_fma_f64 v[68:69], v[8:9], v[4:5], v[0:1]
	v_mul_f64 v[0:1], v[10:11], v[4:5]
	scratch_load_b32 v10, off, off offset:556 ; 4-byte Folded Reload
	v_fma_f64 v[70:71], v[8:9], v[6:7], -v[0:1]
	scratch_load_b128 v[6:9], off, off offset:184 ; 16-byte Folded Reload
	ds_load_b128 v[0:3], v75 offset:31104
	s_waitcnt vmcnt(0) lgkmcnt(0)
	v_mul_f64 v[4:5], v[8:9], v[2:3]
	s_delay_alu instid0(VALU_DEP_1) | instskip(SKIP_1) | instid1(VALU_DEP_1)
	v_fma_f64 v[72:73], v[6:7], v[0:1], v[4:5]
	v_mul_f64 v[0:1], v[8:9], v[0:1]
	v_fma_f64 v[74:75], v[6:7], v[2:3], -v[0:1]
	scratch_load_b128 v[2:5], off, off offset:216 ; 16-byte Folded Reload
	s_waitcnt vmcnt(0)
	v_mul_f64 v[0:1], v[4:5], v[22:23]
	s_delay_alu instid0(VALU_DEP_1) | instskip(SKIP_2) | instid1(VALU_DEP_2)
	v_fma_f64 v[76:77], v[2:3], v[20:21], v[0:1]
	v_mul_f64 v[0:1], v[4:5], v[20:21]
	v_mul_f64 v[20:21], v[56:57], s[2:3]
	v_fma_f64 v[78:79], v[2:3], v[22:23], -v[0:1]
	scratch_load_b128 v[2:5], off, off offset:232 ; 16-byte Folded Reload
	v_mul_f64 v[22:23], v[58:59], s[2:3]
	s_waitcnt vmcnt(0)
	v_mul_f64 v[0:1], v[4:5], v[14:15]
	s_delay_alu instid0(VALU_DEP_1) | instskip(SKIP_1) | instid1(VALU_DEP_1)
	v_fma_f64 v[80:81], v[2:3], v[12:13], v[0:1]
	v_mul_f64 v[0:1], v[4:5], v[12:13]
	v_fma_f64 v[82:83], v[2:3], v[14:15], -v[0:1]
	scratch_load_b64 v[1:2], off, off       ; 8-byte Folded Reload
	s_waitcnt vmcnt(0)
	v_mul_f64 v[2:3], v[26:27], s[2:3]
	v_mul_f64 v[26:27], v[62:63], s[2:3]
	v_mad_u64_u32 v[4:5], null, s6, v1, 0
	s_mul_i32 s6, s5, 0x2d90
	s_delay_alu instid0(VALU_DEP_1) | instskip(NEXT) | instid1(VALU_DEP_1)
	v_mov_b32_e32 v0, v5
	v_mad_u64_u32 v[5:6], null, s7, v1, v[0:1]
	v_mad_u64_u32 v[6:7], null, s4, v10, 0
	s_mul_hi_u32 s7, s4, 0x2d90
	v_mul_f64 v[0:1], v[24:25], s[2:3]
	s_add_i32 s7, s7, s6
	v_mul_f64 v[24:25], v[60:61], s[2:3]
	s_delay_alu instid0(VALU_DEP_4) | instskip(NEXT) | instid1(VALU_DEP_4)
	v_lshlrev_b64 v[4:5], 4, v[4:5]
	v_mad_u64_u32 v[8:9], null, s5, v10, v[7:8]
	v_mul_f64 v[10:11], v[34:35], s[2:3]
	v_mul_f64 v[34:35], v[70:71], s[2:3]
	s_delay_alu instid0(VALU_DEP_4)
	v_add_co_u32 v4, vcc_lo, s0, v4
	v_add_co_ci_u32_e32 v5, vcc_lo, s1, v5, vcc_lo
	v_mov_b32_e32 v7, v8
	v_mul_f64 v[8:9], v[32:33], s[2:3]
	s_mul_i32 s0, s5, 0xffff58f0
	v_mul_f64 v[32:33], v[68:69], s[2:3]
	s_sub_i32 s0, s0, s4
	v_lshlrev_b64 v[6:7], 4, v[6:7]
	s_delay_alu instid0(VALU_DEP_1) | instskip(NEXT) | instid1(VALU_DEP_2)
	v_add_co_u32 v12, vcc_lo, v4, v6
	v_add_co_ci_u32_e32 v13, vcc_lo, v5, v7, vcc_lo
	v_mul_f64 v[4:5], v[28:29], s[2:3]
	s_delay_alu instid0(VALU_DEP_3) | instskip(NEXT) | instid1(VALU_DEP_3)
	v_add_co_u32 v14, vcc_lo, v12, s8
	v_add_co_ci_u32_e32 v15, vcc_lo, s7, v13, vcc_lo
	v_mul_f64 v[6:7], v[30:31], s[2:3]
	s_delay_alu instid0(VALU_DEP_3) | instskip(NEXT) | instid1(VALU_DEP_3)
	v_add_co_u32 v16, vcc_lo, v14, s8
	v_add_co_ci_u32_e32 v17, vcc_lo, s7, v15, vcc_lo
	global_store_b128 v[12:13], v[0:3], off
	v_add_co_u32 v84, vcc_lo, v16, s8
	v_add_co_ci_u32_e32 v85, vcc_lo, s7, v17, vcc_lo
	v_mul_f64 v[0:1], v[36:37], s[2:3]
	s_delay_alu instid0(VALU_DEP_3) | instskip(NEXT) | instid1(VALU_DEP_3)
	v_add_co_u32 v86, vcc_lo, v84, s8
	v_add_co_ci_u32_e32 v87, vcc_lo, s7, v85, vcc_lo
	v_mul_f64 v[2:3], v[38:39], s[2:3]
	v_mul_f64 v[12:13], v[48:49], s[2:3]
	v_mul_f64 v[28:29], v[64:65], s[2:3]
	s_delay_alu instid0(VALU_DEP_4) | instskip(SKIP_3) | instid1(VALU_DEP_4)
	v_mad_u64_u32 v[88:89], null, 0xffff58f0, s4, v[86:87]
	v_mul_f64 v[30:31], v[66:67], s[2:3]
	v_mul_f64 v[36:37], v[72:73], s[2:3]
	;; [unrolled: 1-line block ×3, first 2 shown]
	v_add_nc_u32_e32 v89, s0, v89
	v_add_co_u32 v90, vcc_lo, v88, s8
	s_delay_alu instid0(VALU_DEP_2) | instskip(NEXT) | instid1(VALU_DEP_2)
	v_add_co_ci_u32_e32 v91, vcc_lo, s7, v89, vcc_lo
	v_add_co_u32 v92, vcc_lo, v90, s8
	s_delay_alu instid0(VALU_DEP_2) | instskip(NEXT) | instid1(VALU_DEP_2)
	v_add_co_ci_u32_e32 v93, vcc_lo, s7, v91, vcc_lo
	v_add_co_u32 v94, vcc_lo, v92, s8
	global_store_b128 v[14:15], v[4:7], off
	v_add_co_ci_u32_e32 v95, vcc_lo, s7, v93, vcc_lo
	v_mul_f64 v[4:5], v[40:41], s[2:3]
	v_mul_f64 v[6:7], v[42:43], s[2:3]
	global_store_b128 v[16:17], v[8:11], off
	v_mul_f64 v[8:9], v[44:45], s[2:3]
	v_mul_f64 v[10:11], v[46:47], s[2:3]
	;; [unrolled: 1-line block ×3, first 2 shown]
	v_add_co_u32 v96, vcc_lo, v94, s8
	v_mul_f64 v[16:17], v[52:53], s[2:3]
	v_add_co_ci_u32_e32 v97, vcc_lo, s7, v95, vcc_lo
	v_mul_f64 v[40:41], v[76:77], s[2:3]
	v_mul_f64 v[42:43], v[78:79], s[2:3]
	;; [unrolled: 1-line block ×3, first 2 shown]
	s_delay_alu instid0(VALU_DEP_4) | instskip(SKIP_4) | instid1(VALU_DEP_2)
	v_mad_u64_u32 v[98:99], null, 0xffff58f0, s4, v[96:97]
	v_mul_f64 v[46:47], v[82:83], s[2:3]
	global_store_b128 v[84:85], v[0:3], off
	v_add_nc_u32_e32 v99, s0, v99
	v_add_co_u32 v48, vcc_lo, v98, s8
	v_add_co_ci_u32_e32 v49, vcc_lo, s7, v99, vcc_lo
	s_delay_alu instid0(VALU_DEP_2) | instskip(NEXT) | instid1(VALU_DEP_2)
	v_add_co_u32 v50, vcc_lo, v48, s8
	v_add_co_ci_u32_e32 v51, vcc_lo, s7, v49, vcc_lo
	s_delay_alu instid0(VALU_DEP_2) | instskip(NEXT) | instid1(VALU_DEP_2)
	;; [unrolled: 3-line block ×3, first 2 shown]
	v_add_co_u32 v2, vcc_lo, v0, s8
	v_add_co_ci_u32_e32 v3, vcc_lo, s7, v1, vcc_lo
	global_store_b128 v[86:87], v[4:7], off
	global_store_b128 v[88:89], v[8:11], off
	;; [unrolled: 1-line block ×11, first 2 shown]
.LBB0_2:
	s_nop 0
	s_sendmsg sendmsg(MSG_DEALLOC_VGPRS)
	s_endpgm
	.section	.rodata,"a",@progbits
	.p2align	6, 0x0
	.amdhsa_kernel bluestein_single_fwd_len3645_dim1_dp_op_CI_CI
		.amdhsa_group_segment_fixed_size 58320
		.amdhsa_private_segment_fixed_size 844
		.amdhsa_kernarg_size 104
		.amdhsa_user_sgpr_count 15
		.amdhsa_user_sgpr_dispatch_ptr 0
		.amdhsa_user_sgpr_queue_ptr 0
		.amdhsa_user_sgpr_kernarg_segment_ptr 1
		.amdhsa_user_sgpr_dispatch_id 0
		.amdhsa_user_sgpr_private_segment_size 0
		.amdhsa_wavefront_size32 1
		.amdhsa_uses_dynamic_stack 0
		.amdhsa_enable_private_segment 1
		.amdhsa_system_sgpr_workgroup_id_x 1
		.amdhsa_system_sgpr_workgroup_id_y 0
		.amdhsa_system_sgpr_workgroup_id_z 0
		.amdhsa_system_sgpr_workgroup_info 0
		.amdhsa_system_vgpr_workitem_id 0
		.amdhsa_next_free_vgpr 256
		.amdhsa_next_free_sgpr 23
		.amdhsa_reserve_vcc 1
		.amdhsa_float_round_mode_32 0
		.amdhsa_float_round_mode_16_64 0
		.amdhsa_float_denorm_mode_32 3
		.amdhsa_float_denorm_mode_16_64 3
		.amdhsa_dx10_clamp 1
		.amdhsa_ieee_mode 1
		.amdhsa_fp16_overflow 0
		.amdhsa_workgroup_processor_mode 1
		.amdhsa_memory_ordered 1
		.amdhsa_forward_progress 0
		.amdhsa_shared_vgpr_count 0
		.amdhsa_exception_fp_ieee_invalid_op 0
		.amdhsa_exception_fp_denorm_src 0
		.amdhsa_exception_fp_ieee_div_zero 0
		.amdhsa_exception_fp_ieee_overflow 0
		.amdhsa_exception_fp_ieee_underflow 0
		.amdhsa_exception_fp_ieee_inexact 0
		.amdhsa_exception_int_div_zero 0
	.end_amdhsa_kernel
	.text
.Lfunc_end0:
	.size	bluestein_single_fwd_len3645_dim1_dp_op_CI_CI, .Lfunc_end0-bluestein_single_fwd_len3645_dim1_dp_op_CI_CI
                                        ; -- End function
	.section	.AMDGPU.csdata,"",@progbits
; Kernel info:
; codeLenInByte = 28044
; NumSgprs: 25
; NumVgprs: 256
; ScratchSize: 844
; MemoryBound: 0
; FloatMode: 240
; IeeeMode: 1
; LDSByteSize: 58320 bytes/workgroup (compile time only)
; SGPRBlocks: 3
; VGPRBlocks: 31
; NumSGPRsForWavesPerEU: 25
; NumVGPRsForWavesPerEU: 256
; Occupancy: 4
; WaveLimiterHint : 1
; COMPUTE_PGM_RSRC2:SCRATCH_EN: 1
; COMPUTE_PGM_RSRC2:USER_SGPR: 15
; COMPUTE_PGM_RSRC2:TRAP_HANDLER: 0
; COMPUTE_PGM_RSRC2:TGID_X_EN: 1
; COMPUTE_PGM_RSRC2:TGID_Y_EN: 0
; COMPUTE_PGM_RSRC2:TGID_Z_EN: 0
; COMPUTE_PGM_RSRC2:TIDIG_COMP_CNT: 0
	.text
	.p2alignl 7, 3214868480
	.fill 96, 4, 3214868480
	.type	__hip_cuid_652947ece757a13a,@object ; @__hip_cuid_652947ece757a13a
	.section	.bss,"aw",@nobits
	.globl	__hip_cuid_652947ece757a13a
__hip_cuid_652947ece757a13a:
	.byte	0                               ; 0x0
	.size	__hip_cuid_652947ece757a13a, 1

	.ident	"AMD clang version 19.0.0git (https://github.com/RadeonOpenCompute/llvm-project roc-6.4.0 25133 c7fe45cf4b819c5991fe208aaa96edf142730f1d)"
	.section	".note.GNU-stack","",@progbits
	.addrsig
	.addrsig_sym __hip_cuid_652947ece757a13a
	.amdgpu_metadata
---
amdhsa.kernels:
  - .args:
      - .actual_access:  read_only
        .address_space:  global
        .offset:         0
        .size:           8
        .value_kind:     global_buffer
      - .actual_access:  read_only
        .address_space:  global
        .offset:         8
        .size:           8
        .value_kind:     global_buffer
      - .actual_access:  read_only
        .address_space:  global
        .offset:         16
        .size:           8
        .value_kind:     global_buffer
      - .actual_access:  read_only
        .address_space:  global
        .offset:         24
        .size:           8
        .value_kind:     global_buffer
      - .actual_access:  read_only
        .address_space:  global
        .offset:         32
        .size:           8
        .value_kind:     global_buffer
      - .offset:         40
        .size:           8
        .value_kind:     by_value
      - .address_space:  global
        .offset:         48
        .size:           8
        .value_kind:     global_buffer
      - .address_space:  global
        .offset:         56
        .size:           8
        .value_kind:     global_buffer
      - .address_space:  global
        .offset:         64
        .size:           8
        .value_kind:     global_buffer
      - .address_space:  global
        .offset:         72
        .size:           8
        .value_kind:     global_buffer
      - .offset:         80
        .size:           4
        .value_kind:     by_value
      - .address_space:  global
        .offset:         88
        .size:           8
        .value_kind:     global_buffer
      - .address_space:  global
        .offset:         96
        .size:           8
        .value_kind:     global_buffer
    .group_segment_fixed_size: 58320
    .kernarg_segment_align: 8
    .kernarg_segment_size: 104
    .language:       OpenCL C
    .language_version:
      - 2
      - 0
    .max_flat_workgroup_size: 243
    .name:           bluestein_single_fwd_len3645_dim1_dp_op_CI_CI
    .private_segment_fixed_size: 844
    .sgpr_count:     25
    .sgpr_spill_count: 0
    .symbol:         bluestein_single_fwd_len3645_dim1_dp_op_CI_CI.kd
    .uniform_work_group_size: 1
    .uses_dynamic_stack: false
    .vgpr_count:     256
    .vgpr_spill_count: 210
    .wavefront_size: 32
    .workgroup_processor_mode: 1
amdhsa.target:   amdgcn-amd-amdhsa--gfx1100
amdhsa.version:
  - 1
  - 2
...

	.end_amdgpu_metadata
